;; amdgpu-corpus repo=ROCm/rocSPARSE kind=compiled arch=gfx1250 opt=O3
	.amdgcn_target "amdgcn-amd-amdhsa--gfx1250"
	.amdhsa_code_object_version 6
	.section	.text._ZN9rocsparseL28coommnn_general_block_reduceILj1024EfifEEvT1_S1_PKS1_PKT0_PT2_ll16rocsparse_order_,"axG",@progbits,_ZN9rocsparseL28coommnn_general_block_reduceILj1024EfifEEvT1_S1_PKS1_PKT0_PT2_ll16rocsparse_order_,comdat
	.globl	_ZN9rocsparseL28coommnn_general_block_reduceILj1024EfifEEvT1_S1_PKS1_PKT0_PT2_ll16rocsparse_order_ ; -- Begin function _ZN9rocsparseL28coommnn_general_block_reduceILj1024EfifEEvT1_S1_PKS1_PKT0_PT2_ll16rocsparse_order_
	.p2align	8
	.type	_ZN9rocsparseL28coommnn_general_block_reduceILj1024EfifEEvT1_S1_PKS1_PKT0_PT2_ll16rocsparse_order_,@function
_ZN9rocsparseL28coommnn_general_block_reduceILj1024EfifEEvT1_S1_PKS1_PKT0_PT2_ll16rocsparse_order_: ; @_ZN9rocsparseL28coommnn_general_block_reduceILj1024EfifEEvT1_S1_PKS1_PKT0_PT2_ll16rocsparse_order_
; %bb.0:
	s_load_b64 s[2:3], s[0:1], 0x0
	s_wait_kmcnt 0x0
	s_cmp_lt_i32 s3, 1
	s_cbranch_scc1 .LBB0_52
; %bb.1:
	s_bfe_u32 s12, ttmp6, 0x4000c
	s_bfe_u32 s14, ttmp6, 0x40014
	s_add_co_i32 s12, s12, 1
	s_and_b32 s13, ttmp6, 15
	s_mul_i32 s12, ttmp9, s12
	s_lshr_b32 s15, ttmp7, 16
	s_add_co_i32 s14, s14, 1
	s_add_co_i32 s17, s13, s12
	s_mul_i32 s12, s15, s14
	s_bfe_u32 s13, ttmp6, 0x40008
	s_getreg_b32 s14, hwreg(HW_REG_IB_STS2, 6, 4)
	s_add_co_i32 s16, s13, s12
	s_cmp_eq_u32 s14, 0
	s_load_b256 s[4:11], s[0:1], 0x8
	s_cselect_b32 s16, s15, s16
	s_load_b96 s[12:14], s[0:1], 0x28
	s_wait_xcnt 0x0
	s_mul_i32 s0, s2, s16
	s_cselect_b32 s26, ttmp9, s17
	v_mad_u32 v25, s3, s16, v0
	s_add_co_i32 s1, s0, s26
	v_sub_co_u32 v2, s0, v0, 1
	s_xor_b32 s2, s0, -1
	v_sub_co_u32 v3, s0, v0, 2
	v_lshl_add_u32 v6, v2, 2, 0x1000
	s_xor_b32 s15, s0, -1
	v_sub_co_u32 v2, s0, v0, 4
	s_delay_alu instid0(VALU_DEP_3) | instskip(SKIP_2) | instid1(VALU_DEP_3)
	v_lshl_add_u32 v8, v3, 2, 0x1000
	s_xor_b32 s18, s0, -1
	v_sub_co_u32 v3, s0, v0, 8
	v_lshl_add_u32 v10, v2, 2, 0x1000
	s_xor_b32 s19, s0, -1
	v_sub_co_u32 v2, s0, v0, 16
	s_delay_alu instid0(VALU_DEP_3) | instskip(SKIP_2) | instid1(VALU_DEP_3)
	v_lshl_add_u32 v12, v3, 2, 0x1000
	;; [unrolled: 7-line block ×3, first 2 shown]
	s_xor_b32 s22, s0, -1
	v_subrev_co_u32 v3, s0, 0x80, v0
	v_lshl_add_u32 v18, v2, 2, 0x1000
	s_xor_b32 s23, s0, -1
	v_subrev_co_u32 v2, s0, 0x100, v0
	s_delay_alu instid0(VALU_DEP_3)
	v_lshl_add_u32 v20, v3, 2, 0x1000
	s_xor_b32 s24, s0, -1
	v_subrev_co_u32 v3, s0, 0x200, v0
	s_xor_b32 s25, s0, -1
	s_wait_kmcnt 0x0
	s_cmp_lg_u32 s14, 1
	v_mad_u32 v26, s1, s3, v0
	v_lshlrev_b32_e32 v1, 2, v0
	s_cselect_b32 s14, -1, 0
	s_ashr_i32 s27, s26, 31
	s_mov_b32 s17, 0
	s_lshl_b64 s[28:29], s[26:27], 2
	s_mul_u64 s[26:27], s[10:11], s[26:27]
	s_mul_u64 s[12:13], s[12:13], s[16:17]
	s_lshl_b64 s[26:27], s[26:27], 2
	v_lshl_add_u32 v22, v2, 2, 0x1000
	v_lshl_add_u32 v24, v3, 2, 0x1000
	v_cmp_ne_u32_e64 s0, 0x3ff, v0
	v_mov_b32_e32 v3, 0
	v_or_b32_e32 v4, 0x1000, v1
	v_dual_add_nc_u32 v5, -4, v1 :: v_dual_add_nc_u32 v7, -8, v1
	v_add_nc_u32_e32 v9, -16, v1
	v_subrev_nc_u32_e32 v11, 32, v1
	v_subrev_nc_u32_e32 v13, 64, v1
	v_add_nc_u32_e32 v15, 0xffffff80, v1
	v_add_nc_u32_e32 v17, 0xffffff00, v1
	v_add_nc_u32_e32 v19, 0xfffffe00, v1
	v_add_nc_u32_e32 v21, 0xfffffc00, v1
	v_add_nc_u32_e32 v23, 0xfffff800, v1
	s_add_nc_u64 s[28:29], s[8:9], s[28:29]
	s_lshl_b64 s[12:13], s[12:13], 2
	s_add_nc_u64 s[26:27], s[8:9], s[26:27]
	s_add_nc_u64 s[8:9], s[28:29], s[12:13]
	;; [unrolled: 1-line block ×3, first 2 shown]
	s_branch .LBB0_3
.LBB0_2:                                ;   in Loop: Header=BB0_3 Depth=1
	s_wait_xcnt 0x0
	s_or_b32 exec_lo, exec_lo, s1
	s_addk_co_i32 s17, 0x400
	s_wait_storecnt_dscnt 0x0
	s_cmp_ge_i32 s17, s3
	s_barrier_signal -1
	s_barrier_wait -1
	s_cbranch_scc1 .LBB0_52
.LBB0_3:                                ; =>This Inner Loop Header: Depth=1
	v_dual_mov_b32 v2, -1 :: v_dual_add_nc_u32 v27, s17, v0
	s_delay_alu instid0(VALU_DEP_1)
	v_cmp_gt_i32_e32 vcc_lo, s3, v27
	v_mov_b32_e32 v27, 0
	s_and_saveexec_b32 s1, vcc_lo
	s_cbranch_execz .LBB0_5
; %bb.4:                                ;   in Loop: Header=BB0_3 Depth=1
	v_dual_add_nc_u32 v28, s17, v25 :: v_dual_add_nc_u32 v29, s17, v26
	global_load_b32 v2, v28, s[4:5] scale_offset
	global_load_b32 v27, v29, s[6:7] scale_offset
.LBB0_5:                                ;   in Loop: Header=BB0_3 Depth=1
	s_wait_xcnt 0x0
	s_or_b32 exec_lo, exec_lo, s1
	s_wait_loadcnt 0x1
	ds_store_b32 v1, v2
	s_wait_loadcnt 0x0
	ds_store_b32 v4, v27
	v_dual_mov_b32 v2, 0 :: v_dual_mov_b32 v27, 0
	s_wait_dscnt 0x0
	s_barrier_signal -1
	s_barrier_wait -1
	s_and_saveexec_b32 s1, s2
	s_cbranch_execz .LBB0_9
; %bb.6:                                ;   in Loop: Header=BB0_3 Depth=1
	ds_load_2addr_b32 v[28:29], v5 offset1:1
	v_mov_b32_e32 v27, 0
	s_mov_b32 s16, exec_lo
	s_wait_dscnt 0x0
	v_cmpx_eq_u32_e64 v29, v28
; %bb.7:                                ;   in Loop: Header=BB0_3 Depth=1
	ds_load_b32 v27, v6
; %bb.8:                                ;   in Loop: Header=BB0_3 Depth=1
	s_or_b32 exec_lo, exec_lo, s16
.LBB0_9:                                ;   in Loop: Header=BB0_3 Depth=1
	s_delay_alu instid0(SALU_CYCLE_1)
	s_or_b32 exec_lo, exec_lo, s1
	s_wait_dscnt 0x0
	s_barrier_signal -1
	s_barrier_wait -1
	ds_load_b32 v28, v4
	s_wait_dscnt 0x0
	v_add_f32_e32 v27, v27, v28
	ds_store_b32 v4, v27
	s_wait_dscnt 0x0
	s_barrier_signal -1
	s_barrier_wait -1
	s_and_saveexec_b32 s1, s15
	s_cbranch_execz .LBB0_13
; %bb.10:                               ;   in Loop: Header=BB0_3 Depth=1
	ds_load_b32 v2, v1
	ds_load_b32 v27, v7
	s_wait_dscnt 0x0
	v_cmp_eq_u32_e32 vcc_lo, v2, v27
	v_mov_b32_e32 v2, 0
	s_and_saveexec_b32 s16, vcc_lo
; %bb.11:                               ;   in Loop: Header=BB0_3 Depth=1
	ds_load_b32 v2, v8
; %bb.12:                               ;   in Loop: Header=BB0_3 Depth=1
	s_or_b32 exec_lo, exec_lo, s16
.LBB0_13:                               ;   in Loop: Header=BB0_3 Depth=1
	s_delay_alu instid0(SALU_CYCLE_1)
	s_or_b32 exec_lo, exec_lo, s1
	s_wait_dscnt 0x0
	s_barrier_signal -1
	s_barrier_wait -1
	ds_load_b32 v27, v4
	s_wait_dscnt 0x0
	v_dual_add_f32 v28, v2, v27 :: v_dual_mov_b32 v2, 0
	v_mov_b32_e32 v27, 0
	ds_store_b32 v4, v28
	s_wait_dscnt 0x0
	s_barrier_signal -1
	s_barrier_wait -1
	s_and_saveexec_b32 s1, s18
	s_cbranch_execz .LBB0_17
; %bb.14:                               ;   in Loop: Header=BB0_3 Depth=1
	ds_load_b32 v27, v1
	ds_load_b32 v28, v9
	s_wait_dscnt 0x0
	v_cmp_eq_u32_e32 vcc_lo, v27, v28
	v_mov_b32_e32 v27, 0
	s_and_saveexec_b32 s16, vcc_lo
; %bb.15:                               ;   in Loop: Header=BB0_3 Depth=1
	ds_load_b32 v27, v10
; %bb.16:                               ;   in Loop: Header=BB0_3 Depth=1
	s_or_b32 exec_lo, exec_lo, s16
.LBB0_17:                               ;   in Loop: Header=BB0_3 Depth=1
	s_delay_alu instid0(SALU_CYCLE_1)
	s_or_b32 exec_lo, exec_lo, s1
	s_wait_dscnt 0x0
	s_barrier_signal -1
	s_barrier_wait -1
	ds_load_b32 v28, v4
	s_wait_dscnt 0x0
	v_add_f32_e32 v27, v27, v28
	ds_store_b32 v4, v27
	s_wait_dscnt 0x0
	s_barrier_signal -1
	s_barrier_wait -1
	s_and_saveexec_b32 s1, s19
	s_cbranch_execz .LBB0_21
; %bb.18:                               ;   in Loop: Header=BB0_3 Depth=1
	ds_load_b32 v2, v1
	ds_load_b32 v27, v11
	s_wait_dscnt 0x0
	v_cmp_eq_u32_e32 vcc_lo, v2, v27
	v_mov_b32_e32 v2, 0
	s_and_saveexec_b32 s16, vcc_lo
; %bb.19:                               ;   in Loop: Header=BB0_3 Depth=1
	ds_load_b32 v2, v12
; %bb.20:                               ;   in Loop: Header=BB0_3 Depth=1
	s_or_b32 exec_lo, exec_lo, s16
.LBB0_21:                               ;   in Loop: Header=BB0_3 Depth=1
	s_delay_alu instid0(SALU_CYCLE_1)
	s_or_b32 exec_lo, exec_lo, s1
	s_wait_dscnt 0x0
	s_barrier_signal -1
	s_barrier_wait -1
	ds_load_b32 v27, v4
	s_wait_dscnt 0x0
	v_dual_add_f32 v28, v2, v27 :: v_dual_mov_b32 v2, 0
	v_mov_b32_e32 v27, 0
	ds_store_b32 v4, v28
	s_wait_dscnt 0x0
	s_barrier_signal -1
	s_barrier_wait -1
	s_and_saveexec_b32 s1, s20
	s_cbranch_execz .LBB0_25
; %bb.22:                               ;   in Loop: Header=BB0_3 Depth=1
	ds_load_b32 v27, v1
	ds_load_b32 v28, v13
	s_wait_dscnt 0x0
	v_cmp_eq_u32_e32 vcc_lo, v27, v28
	v_mov_b32_e32 v27, 0
	s_and_saveexec_b32 s16, vcc_lo
; %bb.23:                               ;   in Loop: Header=BB0_3 Depth=1
	ds_load_b32 v27, v14
; %bb.24:                               ;   in Loop: Header=BB0_3 Depth=1
	s_or_b32 exec_lo, exec_lo, s16
.LBB0_25:                               ;   in Loop: Header=BB0_3 Depth=1
	s_delay_alu instid0(SALU_CYCLE_1)
	s_or_b32 exec_lo, exec_lo, s1
	s_wait_dscnt 0x0
	s_barrier_signal -1
	s_barrier_wait -1
	ds_load_b32 v28, v4
	s_wait_dscnt 0x0
	v_add_f32_e32 v27, v27, v28
	ds_store_b32 v4, v27
	s_wait_dscnt 0x0
	s_barrier_signal -1
	s_barrier_wait -1
	s_and_saveexec_b32 s1, s21
	s_cbranch_execz .LBB0_29
; %bb.26:                               ;   in Loop: Header=BB0_3 Depth=1
	ds_load_b32 v2, v1
	ds_load_b32 v27, v15
	s_wait_dscnt 0x0
	v_cmp_eq_u32_e32 vcc_lo, v2, v27
	v_mov_b32_e32 v2, 0
	s_and_saveexec_b32 s16, vcc_lo
; %bb.27:                               ;   in Loop: Header=BB0_3 Depth=1
	ds_load_b32 v2, v16
; %bb.28:                               ;   in Loop: Header=BB0_3 Depth=1
	s_or_b32 exec_lo, exec_lo, s16
.LBB0_29:                               ;   in Loop: Header=BB0_3 Depth=1
	s_delay_alu instid0(SALU_CYCLE_1)
	s_or_b32 exec_lo, exec_lo, s1
	s_wait_dscnt 0x0
	s_barrier_signal -1
	s_barrier_wait -1
	ds_load_b32 v27, v4
	s_wait_dscnt 0x0
	v_dual_add_f32 v28, v2, v27 :: v_dual_mov_b32 v2, 0
	v_mov_b32_e32 v27, 0
	ds_store_b32 v4, v28
	s_wait_dscnt 0x0
	s_barrier_signal -1
	s_barrier_wait -1
	s_and_saveexec_b32 s1, s22
	s_cbranch_execz .LBB0_33
; %bb.30:                               ;   in Loop: Header=BB0_3 Depth=1
	ds_load_b32 v27, v1
	ds_load_b32 v28, v17
	s_wait_dscnt 0x0
	v_cmp_eq_u32_e32 vcc_lo, v27, v28
	v_mov_b32_e32 v27, 0
	s_and_saveexec_b32 s16, vcc_lo
; %bb.31:                               ;   in Loop: Header=BB0_3 Depth=1
	ds_load_b32 v27, v18
; %bb.32:                               ;   in Loop: Header=BB0_3 Depth=1
	s_or_b32 exec_lo, exec_lo, s16
.LBB0_33:                               ;   in Loop: Header=BB0_3 Depth=1
	s_delay_alu instid0(SALU_CYCLE_1)
	s_or_b32 exec_lo, exec_lo, s1
	s_wait_dscnt 0x0
	s_barrier_signal -1
	s_barrier_wait -1
	ds_load_b32 v28, v4
	s_wait_dscnt 0x0
	v_add_f32_e32 v27, v27, v28
	ds_store_b32 v4, v27
	s_wait_dscnt 0x0
	s_barrier_signal -1
	s_barrier_wait -1
	s_and_saveexec_b32 s1, s23
	s_cbranch_execz .LBB0_37
; %bb.34:                               ;   in Loop: Header=BB0_3 Depth=1
	ds_load_b32 v2, v1
	ds_load_b32 v27, v19
	s_wait_dscnt 0x0
	v_cmp_eq_u32_e32 vcc_lo, v2, v27
	v_mov_b32_e32 v2, 0
	s_and_saveexec_b32 s16, vcc_lo
; %bb.35:                               ;   in Loop: Header=BB0_3 Depth=1
	ds_load_b32 v2, v20
; %bb.36:                               ;   in Loop: Header=BB0_3 Depth=1
	s_or_b32 exec_lo, exec_lo, s16
.LBB0_37:                               ;   in Loop: Header=BB0_3 Depth=1
	s_delay_alu instid0(SALU_CYCLE_1)
	s_or_b32 exec_lo, exec_lo, s1
	s_wait_dscnt 0x0
	s_barrier_signal -1
	s_barrier_wait -1
	ds_load_b32 v27, v4
	s_wait_dscnt 0x0
	v_dual_add_f32 v28, v2, v27 :: v_dual_mov_b32 v2, 0
	v_mov_b32_e32 v27, 0
	ds_store_b32 v4, v28
	s_wait_dscnt 0x0
	s_barrier_signal -1
	s_barrier_wait -1
	s_and_saveexec_b32 s1, s24
	s_cbranch_execz .LBB0_41
; %bb.38:                               ;   in Loop: Header=BB0_3 Depth=1
	ds_load_b32 v27, v1
	ds_load_b32 v28, v21
	s_wait_dscnt 0x0
	v_cmp_eq_u32_e32 vcc_lo, v27, v28
	v_mov_b32_e32 v27, 0
	s_and_saveexec_b32 s16, vcc_lo
; %bb.39:                               ;   in Loop: Header=BB0_3 Depth=1
	ds_load_b32 v27, v22
; %bb.40:                               ;   in Loop: Header=BB0_3 Depth=1
	s_or_b32 exec_lo, exec_lo, s16
.LBB0_41:                               ;   in Loop: Header=BB0_3 Depth=1
	s_delay_alu instid0(SALU_CYCLE_1)
	s_or_b32 exec_lo, exec_lo, s1
	s_wait_dscnt 0x0
	s_barrier_signal -1
	s_barrier_wait -1
	ds_load_b32 v28, v4
	s_wait_dscnt 0x0
	v_add_f32_e32 v27, v27, v28
	ds_store_b32 v4, v27
	s_wait_dscnt 0x0
	s_barrier_signal -1
	s_barrier_wait -1
	s_and_saveexec_b32 s1, s25
	s_cbranch_execz .LBB0_45
; %bb.42:                               ;   in Loop: Header=BB0_3 Depth=1
	ds_load_b32 v2, v1
	ds_load_b32 v27, v23
	s_wait_dscnt 0x0
	v_cmp_eq_u32_e32 vcc_lo, v2, v27
	v_mov_b32_e32 v2, 0
	s_and_saveexec_b32 s16, vcc_lo
; %bb.43:                               ;   in Loop: Header=BB0_3 Depth=1
	ds_load_b32 v2, v24
; %bb.44:                               ;   in Loop: Header=BB0_3 Depth=1
	s_or_b32 exec_lo, exec_lo, s16
.LBB0_45:                               ;   in Loop: Header=BB0_3 Depth=1
	s_delay_alu instid0(SALU_CYCLE_1)
	s_or_b32 exec_lo, exec_lo, s1
	s_wait_dscnt 0x0
	s_barrier_signal -1
	s_barrier_wait -1
	ds_load_b32 v27, v4
	s_wait_dscnt 0x0
	v_dual_add_f32 v2, v2, v27 :: v_dual_mov_b32 v27, -1
	ds_store_b32 v4, v2
	s_wait_dscnt 0x0
	s_barrier_signal -1
	s_barrier_wait -1
	ds_load_b32 v2, v1
	s_and_saveexec_b32 s1, s0
; %bb.46:                               ;   in Loop: Header=BB0_3 Depth=1
	ds_load_b32 v27, v1 offset:4
; %bb.47:                               ;   in Loop: Header=BB0_3 Depth=1
	s_or_b32 exec_lo, exec_lo, s1
	s_wait_dscnt 0x0
	v_cmp_ne_u32_e32 vcc_lo, v2, v27
	v_cmp_lt_i32_e64 s1, -1, v2
	s_and_b32 s16, s1, vcc_lo
	s_delay_alu instid0(SALU_CYCLE_1)
	s_and_saveexec_b32 s1, s16
	s_cbranch_execz .LBB0_2
; %bb.48:                               ;   in Loop: Header=BB0_3 Depth=1
	ds_load_b32 v27, v4
	s_and_b32 vcc_lo, exec_lo, s14
	s_mov_b32 s16, -1
	s_cbranch_vccz .LBB0_50
; %bb.49:                               ;   in Loop: Header=BB0_3 Depth=1
	v_mul_u64_e32 v[28:29], s[10:11], v[2:3]
	s_mov_b32 s16, 0
	s_delay_alu instid0(VALU_DEP_1)
	v_lshl_add_u64 v[28:29], v[28:29], 2, s[8:9]
	global_load_b32 v30, v[28:29], off
	s_wait_loadcnt_dscnt 0x0
	v_add_f32_e32 v30, v27, v30
	global_store_b32 v[28:29], v30, off
.LBB0_50:                               ;   in Loop: Header=BB0_3 Depth=1
	s_and_not1_b32 vcc_lo, exec_lo, s16
	s_cbranch_vccnz .LBB0_2
; %bb.51:                               ;   in Loop: Header=BB0_3 Depth=1
	s_wait_xcnt 0x0
	v_lshl_add_u64 v[28:29], v[2:3], 2, s[12:13]
	global_load_b32 v2, v[28:29], off
	s_wait_loadcnt_dscnt 0x0
	v_add_f32_e32 v2, v27, v2
	global_store_b32 v[28:29], v2, off
	s_branch .LBB0_2
.LBB0_52:
	s_endpgm
	.section	.rodata,"a",@progbits
	.p2align	6, 0x0
	.amdhsa_kernel _ZN9rocsparseL28coommnn_general_block_reduceILj1024EfifEEvT1_S1_PKS1_PKT0_PT2_ll16rocsparse_order_
		.amdhsa_group_segment_fixed_size 8192
		.amdhsa_private_segment_fixed_size 0
		.amdhsa_kernarg_size 52
		.amdhsa_user_sgpr_count 2
		.amdhsa_user_sgpr_dispatch_ptr 0
		.amdhsa_user_sgpr_queue_ptr 0
		.amdhsa_user_sgpr_kernarg_segment_ptr 1
		.amdhsa_user_sgpr_dispatch_id 0
		.amdhsa_user_sgpr_kernarg_preload_length 0
		.amdhsa_user_sgpr_kernarg_preload_offset 0
		.amdhsa_user_sgpr_private_segment_size 0
		.amdhsa_wavefront_size32 1
		.amdhsa_uses_dynamic_stack 0
		.amdhsa_enable_private_segment 0
		.amdhsa_system_sgpr_workgroup_id_x 1
		.amdhsa_system_sgpr_workgroup_id_y 0
		.amdhsa_system_sgpr_workgroup_id_z 1
		.amdhsa_system_sgpr_workgroup_info 0
		.amdhsa_system_vgpr_workitem_id 0
		.amdhsa_next_free_vgpr 31
		.amdhsa_next_free_sgpr 30
		.amdhsa_named_barrier_count 0
		.amdhsa_reserve_vcc 1
		.amdhsa_float_round_mode_32 0
		.amdhsa_float_round_mode_16_64 0
		.amdhsa_float_denorm_mode_32 3
		.amdhsa_float_denorm_mode_16_64 3
		.amdhsa_fp16_overflow 0
		.amdhsa_memory_ordered 1
		.amdhsa_forward_progress 1
		.amdhsa_inst_pref_size 16
		.amdhsa_round_robin_scheduling 0
		.amdhsa_exception_fp_ieee_invalid_op 0
		.amdhsa_exception_fp_denorm_src 0
		.amdhsa_exception_fp_ieee_div_zero 0
		.amdhsa_exception_fp_ieee_overflow 0
		.amdhsa_exception_fp_ieee_underflow 0
		.amdhsa_exception_fp_ieee_inexact 0
		.amdhsa_exception_int_div_zero 0
	.end_amdhsa_kernel
	.section	.text._ZN9rocsparseL28coommnn_general_block_reduceILj1024EfifEEvT1_S1_PKS1_PKT0_PT2_ll16rocsparse_order_,"axG",@progbits,_ZN9rocsparseL28coommnn_general_block_reduceILj1024EfifEEvT1_S1_PKS1_PKT0_PT2_ll16rocsparse_order_,comdat
.Lfunc_end0:
	.size	_ZN9rocsparseL28coommnn_general_block_reduceILj1024EfifEEvT1_S1_PKS1_PKT0_PT2_ll16rocsparse_order_, .Lfunc_end0-_ZN9rocsparseL28coommnn_general_block_reduceILj1024EfifEEvT1_S1_PKS1_PKT0_PT2_ll16rocsparse_order_
                                        ; -- End function
	.set _ZN9rocsparseL28coommnn_general_block_reduceILj1024EfifEEvT1_S1_PKS1_PKT0_PT2_ll16rocsparse_order_.num_vgpr, 31
	.set _ZN9rocsparseL28coommnn_general_block_reduceILj1024EfifEEvT1_S1_PKS1_PKT0_PT2_ll16rocsparse_order_.num_agpr, 0
	.set _ZN9rocsparseL28coommnn_general_block_reduceILj1024EfifEEvT1_S1_PKS1_PKT0_PT2_ll16rocsparse_order_.numbered_sgpr, 30
	.set _ZN9rocsparseL28coommnn_general_block_reduceILj1024EfifEEvT1_S1_PKS1_PKT0_PT2_ll16rocsparse_order_.num_named_barrier, 0
	.set _ZN9rocsparseL28coommnn_general_block_reduceILj1024EfifEEvT1_S1_PKS1_PKT0_PT2_ll16rocsparse_order_.private_seg_size, 0
	.set _ZN9rocsparseL28coommnn_general_block_reduceILj1024EfifEEvT1_S1_PKS1_PKT0_PT2_ll16rocsparse_order_.uses_vcc, 1
	.set _ZN9rocsparseL28coommnn_general_block_reduceILj1024EfifEEvT1_S1_PKS1_PKT0_PT2_ll16rocsparse_order_.uses_flat_scratch, 0
	.set _ZN9rocsparseL28coommnn_general_block_reduceILj1024EfifEEvT1_S1_PKS1_PKT0_PT2_ll16rocsparse_order_.has_dyn_sized_stack, 0
	.set _ZN9rocsparseL28coommnn_general_block_reduceILj1024EfifEEvT1_S1_PKS1_PKT0_PT2_ll16rocsparse_order_.has_recursion, 0
	.set _ZN9rocsparseL28coommnn_general_block_reduceILj1024EfifEEvT1_S1_PKS1_PKT0_PT2_ll16rocsparse_order_.has_indirect_call, 0
	.section	.AMDGPU.csdata,"",@progbits
; Kernel info:
; codeLenInByte = 2020
; TotalNumSgprs: 32
; NumVgprs: 31
; ScratchSize: 0
; MemoryBound: 0
; FloatMode: 240
; IeeeMode: 1
; LDSByteSize: 8192 bytes/workgroup (compile time only)
; SGPRBlocks: 0
; VGPRBlocks: 1
; NumSGPRsForWavesPerEU: 32
; NumVGPRsForWavesPerEU: 31
; NamedBarCnt: 0
; Occupancy: 16
; WaveLimiterHint : 0
; COMPUTE_PGM_RSRC2:SCRATCH_EN: 0
; COMPUTE_PGM_RSRC2:USER_SGPR: 2
; COMPUTE_PGM_RSRC2:TRAP_HANDLER: 0
; COMPUTE_PGM_RSRC2:TGID_X_EN: 1
; COMPUTE_PGM_RSRC2:TGID_Y_EN: 0
; COMPUTE_PGM_RSRC2:TGID_Z_EN: 1
; COMPUTE_PGM_RSRC2:TIDIG_COMP_CNT: 0
	.section	.text._ZN9rocsparseL28coommnn_general_block_reduceILj1024EflfEEvT1_S1_PKS1_PKT0_PT2_ll16rocsparse_order_,"axG",@progbits,_ZN9rocsparseL28coommnn_general_block_reduceILj1024EflfEEvT1_S1_PKS1_PKT0_PT2_ll16rocsparse_order_,comdat
	.globl	_ZN9rocsparseL28coommnn_general_block_reduceILj1024EflfEEvT1_S1_PKS1_PKT0_PT2_ll16rocsparse_order_ ; -- Begin function _ZN9rocsparseL28coommnn_general_block_reduceILj1024EflfEEvT1_S1_PKS1_PKT0_PT2_ll16rocsparse_order_
	.p2align	8
	.type	_ZN9rocsparseL28coommnn_general_block_reduceILj1024EflfEEvT1_S1_PKS1_PKT0_PT2_ll16rocsparse_order_,@function
_ZN9rocsparseL28coommnn_general_block_reduceILj1024EflfEEvT1_S1_PKS1_PKT0_PT2_ll16rocsparse_order_: ; @_ZN9rocsparseL28coommnn_general_block_reduceILj1024EflfEEvT1_S1_PKS1_PKT0_PT2_ll16rocsparse_order_
; %bb.0:
	s_load_b128 s[12:15], s[0:1], 0x0
	s_wait_kmcnt 0x0
	v_cmp_lt_i64_e64 s2, s[14:15], 1
	s_and_b32 vcc_lo, exec_lo, s2
	s_cbranch_vccnz .LBB1_52
; %bb.1:
	s_clause 0x1
	s_load_b256 s[4:11], s[0:1], 0x10
	s_load_b96 s[16:18], s[0:1], 0x30
	s_wait_xcnt 0x0
	s_bfe_u32 s1, ttmp6, 0x40014
	s_bfe_u32 s19, ttmp6, 0x4000c
	s_lshr_b32 s0, ttmp7, 16
	s_add_co_i32 s1, s1, 1
	s_add_co_i32 s19, s19, 1
	s_bfe_u32 s2, ttmp6, 0x40008
	s_and_b32 s3, ttmp6, 15
	s_mul_i32 s1, s0, s1
	s_mul_i32 s19, ttmp9, s19
	s_getreg_b32 s20, hwreg(HW_REG_IB_STS2, 6, 4)
	s_add_co_i32 s1, s2, s1
	s_add_co_i32 s2, s3, s19
	s_cmp_eq_u32 s20, 0
	s_mov_b32 s3, 0
	s_cselect_b32 s30, s0, s1
	v_sub_co_u32 v3, s0, v0, 1
	s_cselect_b32 s2, ttmp9, s2
	s_xor_b32 s19, s0, -1
	v_sub_co_u32 v4, s0, v0, 2
	v_lshl_add_u32 v14, v3, 2, 0x2000
	s_xor_b32 s20, s0, -1
	v_sub_co_u32 v3, s0, v0, 4
	s_delay_alu instid0(VALU_DEP_3) | instskip(SKIP_2) | instid1(VALU_DEP_3)
	v_lshl_add_u32 v16, v4, 2, 0x2000
	s_xor_b32 s21, s0, -1
	v_sub_co_u32 v4, s0, v0, 8
	v_lshl_add_u32 v18, v3, 2, 0x2000
	s_xor_b32 s22, s0, -1
	v_sub_co_u32 v3, s0, v0, 16
	s_delay_alu instid0(VALU_DEP_3) | instskip(SKIP_2) | instid1(VALU_DEP_3)
	v_lshl_add_u32 v20, v4, 2, 0x2000
	s_xor_b32 s23, s0, -1
	v_sub_co_u32 v4, s0, v0, 32
	v_lshl_add_u32 v22, v3, 2, 0x2000
	s_xor_b32 s24, s0, -1
	v_sub_co_u32 v3, s0, v0, 64
	s_delay_alu instid0(VALU_DEP_3) | instskip(SKIP_2) | instid1(VALU_DEP_3)
	v_lshl_add_u32 v24, v4, 2, 0x2000
	s_xor_b32 s25, s0, -1
	v_subrev_co_u32 v4, s0, 0x80, v0
	v_lshl_add_u32 v26, v3, 2, 0x2000
	s_xor_b32 s26, s0, -1
	v_subrev_co_u32 v3, s0, 0x100, v0
	s_delay_alu instid0(VALU_DEP_3)
	v_lshl_add_u32 v28, v4, 2, 0x2000
	s_xor_b32 s27, s0, -1
	v_subrev_co_u32 v4, s0, 0x200, v0
	s_mov_b32 s31, s3
	s_lshl_b64 s[34:35], s[2:3], 2
	s_xor_b32 s28, s0, -1
	v_dual_mov_b32 v1, 0 :: v_dual_lshlrev_b32 v6, 2, v0
	s_wait_kmcnt 0x0
	s_cmp_lg_u32 s18, 1
	s_mul_u64 s[12:13], s[12:13], s[30:31]
	s_cselect_b32 s18, -1, 0
	s_lshl_b64 s[12:13], s[12:13], 2
	s_mul_u64 s[38:39], s[14:15], s[30:31]
	s_add_nc_u64 s[12:13], s[12:13], s[34:35]
	v_lshlrev_b32_e32 v2, 3, v0
	v_lshl_add_u32 v30, v3, 2, 0x2000
	v_dual_mov_b32 v3, v1 :: v_dual_mov_b32 v7, v1
	s_mul_u64 s[16:17], s[16:17], s[30:31]
	s_lshl_b64 s[30:31], s[38:39], 3
	s_mul_u64 s[12:13], s[14:15], s[12:13]
	s_add_nc_u64 s[4:5], s[4:5], s[30:31]
	s_add_nc_u64 s[6:7], s[6:7], s[12:13]
	s_mul_u64 s[2:3], s[10:11], s[2:3]
	v_or_b32_e32 v12, 0x2000, v6
	v_lshl_add_u32 v32, v4, 2, 0x2000
	v_add_nc_u64_e32 v[4:5], s[4:5], v[2:3]
	v_add_nc_u64_e32 v[6:7], s[6:7], v[6:7]
	s_lshl_b64 s[2:3], s[2:3], 2
	v_dual_add_nc_u32 v13, -8, v2 :: v_dual_add_nc_u32 v15, -16, v2
	v_subrev_nc_u32_e32 v17, 32, v2
	v_subrev_nc_u32_e32 v19, 64, v2
	v_add_nc_u32_e32 v21, 0xffffff80, v2
	v_add_nc_u32_e32 v23, 0xffffff00, v2
	;; [unrolled: 1-line block ×6, first 2 shown]
	v_cmp_ne_u32_e64 s0, 0x3ff, v0
	s_add_nc_u64 s[36:37], s[8:9], s[34:35]
	s_lshl_b64 s[4:5], s[16:17], 2
	s_add_nc_u64 s[6:7], s[8:9], s[2:3]
	s_add_nc_u64 s[2:3], s[36:37], s[4:5]
	;; [unrolled: 1-line block ×3, first 2 shown]
	s_mov_b64 s[6:7], 0
	s_branch .LBB1_3
.LBB1_2:                                ;   in Loop: Header=BB1_3 Depth=1
	s_wait_xcnt 0x0
	s_or_b32 exec_lo, exec_lo, s1
	s_add_nc_u64 s[6:7], s[6:7], 0x400
	v_add_nc_u64_e32 v[4:5], 0x2000, v[4:5]
	v_cmp_ge_i64_e64 s1, s[6:7], s[14:15]
	v_add_nc_u64_e32 v[6:7], 0x1000, v[6:7]
	s_wait_storecnt_dscnt 0x0
	s_barrier_signal -1
	s_barrier_wait -1
	s_and_b32 vcc_lo, exec_lo, s1
	s_cbranch_vccnz .LBB1_52
.LBB1_3:                                ; =>This Inner Loop Header: Depth=1
	v_add_nc_u64_e32 v[8:9], s[6:7], v[0:1]
	v_mov_b32_e32 v3, 0
	s_delay_alu instid0(VALU_DEP_2)
	v_cmp_gt_i64_e32 vcc_lo, s[14:15], v[8:9]
	v_mov_b64_e32 v[8:9], -1
	s_and_saveexec_b32 s1, vcc_lo
	s_cbranch_execz .LBB1_5
; %bb.4:                                ;   in Loop: Header=BB1_3 Depth=1
	global_load_b64 v[8:9], v[4:5], off
	global_load_b32 v3, v[6:7], off
.LBB1_5:                                ;   in Loop: Header=BB1_3 Depth=1
	s_wait_xcnt 0x0
	s_or_b32 exec_lo, exec_lo, s1
	s_wait_loadcnt 0x1
	ds_store_b64 v2, v[8:9]
	s_wait_loadcnt 0x0
	ds_store_b32 v12, v3
	v_dual_mov_b32 v3, 0 :: v_dual_mov_b32 v8, 0
	s_wait_dscnt 0x0
	s_barrier_signal -1
	s_barrier_wait -1
	s_and_saveexec_b32 s1, s19
	s_cbranch_execz .LBB1_9
; %bb.6:                                ;   in Loop: Header=BB1_3 Depth=1
	ds_load_2addr_b64 v[8:11], v13 offset1:1
	s_wait_dscnt 0x0
	v_cmp_eq_u64_e32 vcc_lo, v[10:11], v[8:9]
	v_mov_b32_e32 v8, 0
	s_and_saveexec_b32 s8, vcc_lo
; %bb.7:                                ;   in Loop: Header=BB1_3 Depth=1
	ds_load_b32 v8, v14
; %bb.8:                                ;   in Loop: Header=BB1_3 Depth=1
	s_or_b32 exec_lo, exec_lo, s8
.LBB1_9:                                ;   in Loop: Header=BB1_3 Depth=1
	s_delay_alu instid0(SALU_CYCLE_1)
	s_or_b32 exec_lo, exec_lo, s1
	s_wait_dscnt 0x0
	s_barrier_signal -1
	s_barrier_wait -1
	ds_load_b32 v9, v12
	s_wait_dscnt 0x0
	v_add_f32_e32 v8, v8, v9
	ds_store_b32 v12, v8
	s_wait_dscnt 0x0
	s_barrier_signal -1
	s_barrier_wait -1
	s_and_saveexec_b32 s1, s20
	s_cbranch_execz .LBB1_13
; %bb.10:                               ;   in Loop: Header=BB1_3 Depth=1
	ds_load_b64 v[8:9], v2
	ds_load_b64 v[10:11], v15
	v_mov_b32_e32 v3, 0
	s_mov_b32 s8, exec_lo
	s_wait_dscnt 0x0
	v_cmpx_eq_u64_e64 v[8:9], v[10:11]
; %bb.11:                               ;   in Loop: Header=BB1_3 Depth=1
	ds_load_b32 v3, v16
; %bb.12:                               ;   in Loop: Header=BB1_3 Depth=1
	s_or_b32 exec_lo, exec_lo, s8
.LBB1_13:                               ;   in Loop: Header=BB1_3 Depth=1
	s_delay_alu instid0(SALU_CYCLE_1)
	s_or_b32 exec_lo, exec_lo, s1
	s_wait_dscnt 0x0
	s_barrier_signal -1
	s_barrier_wait -1
	ds_load_b32 v8, v12
	s_wait_dscnt 0x0
	v_dual_add_f32 v9, v3, v8 :: v_dual_mov_b32 v3, 0
	v_mov_b32_e32 v8, 0
	ds_store_b32 v12, v9
	s_wait_dscnt 0x0
	s_barrier_signal -1
	s_barrier_wait -1
	s_and_saveexec_b32 s1, s21
	s_cbranch_execz .LBB1_17
; %bb.14:                               ;   in Loop: Header=BB1_3 Depth=1
	ds_load_b64 v[8:9], v2
	ds_load_b64 v[10:11], v17
	s_wait_dscnt 0x0
	v_cmp_eq_u64_e32 vcc_lo, v[8:9], v[10:11]
	v_mov_b32_e32 v8, 0
	s_and_saveexec_b32 s8, vcc_lo
; %bb.15:                               ;   in Loop: Header=BB1_3 Depth=1
	ds_load_b32 v8, v18
; %bb.16:                               ;   in Loop: Header=BB1_3 Depth=1
	s_or_b32 exec_lo, exec_lo, s8
.LBB1_17:                               ;   in Loop: Header=BB1_3 Depth=1
	s_delay_alu instid0(SALU_CYCLE_1)
	s_or_b32 exec_lo, exec_lo, s1
	s_wait_dscnt 0x0
	s_barrier_signal -1
	s_barrier_wait -1
	ds_load_b32 v9, v12
	s_wait_dscnt 0x0
	v_add_f32_e32 v8, v8, v9
	ds_store_b32 v12, v8
	s_wait_dscnt 0x0
	s_barrier_signal -1
	s_barrier_wait -1
	s_and_saveexec_b32 s1, s22
	s_cbranch_execz .LBB1_21
; %bb.18:                               ;   in Loop: Header=BB1_3 Depth=1
	ds_load_b64 v[8:9], v2
	ds_load_b64 v[10:11], v19
	v_mov_b32_e32 v3, 0
	s_mov_b32 s8, exec_lo
	s_wait_dscnt 0x0
	v_cmpx_eq_u64_e64 v[8:9], v[10:11]
; %bb.19:                               ;   in Loop: Header=BB1_3 Depth=1
	ds_load_b32 v3, v20
; %bb.20:                               ;   in Loop: Header=BB1_3 Depth=1
	s_or_b32 exec_lo, exec_lo, s8
.LBB1_21:                               ;   in Loop: Header=BB1_3 Depth=1
	s_delay_alu instid0(SALU_CYCLE_1)
	s_or_b32 exec_lo, exec_lo, s1
	s_wait_dscnt 0x0
	s_barrier_signal -1
	s_barrier_wait -1
	ds_load_b32 v8, v12
	s_wait_dscnt 0x0
	v_dual_add_f32 v9, v3, v8 :: v_dual_mov_b32 v3, 0
	v_mov_b32_e32 v8, 0
	ds_store_b32 v12, v9
	s_wait_dscnt 0x0
	s_barrier_signal -1
	s_barrier_wait -1
	s_and_saveexec_b32 s1, s23
	s_cbranch_execz .LBB1_25
; %bb.22:                               ;   in Loop: Header=BB1_3 Depth=1
	ds_load_b64 v[8:9], v2
	ds_load_b64 v[10:11], v21
	s_wait_dscnt 0x0
	v_cmp_eq_u64_e32 vcc_lo, v[8:9], v[10:11]
	v_mov_b32_e32 v8, 0
	s_and_saveexec_b32 s8, vcc_lo
; %bb.23:                               ;   in Loop: Header=BB1_3 Depth=1
	ds_load_b32 v8, v22
; %bb.24:                               ;   in Loop: Header=BB1_3 Depth=1
	s_or_b32 exec_lo, exec_lo, s8
.LBB1_25:                               ;   in Loop: Header=BB1_3 Depth=1
	s_delay_alu instid0(SALU_CYCLE_1)
	s_or_b32 exec_lo, exec_lo, s1
	s_wait_dscnt 0x0
	s_barrier_signal -1
	s_barrier_wait -1
	ds_load_b32 v9, v12
	s_wait_dscnt 0x0
	v_add_f32_e32 v8, v8, v9
	ds_store_b32 v12, v8
	s_wait_dscnt 0x0
	s_barrier_signal -1
	s_barrier_wait -1
	s_and_saveexec_b32 s1, s24
	s_cbranch_execz .LBB1_29
; %bb.26:                               ;   in Loop: Header=BB1_3 Depth=1
	ds_load_b64 v[8:9], v2
	ds_load_b64 v[10:11], v23
	v_mov_b32_e32 v3, 0
	s_mov_b32 s8, exec_lo
	s_wait_dscnt 0x0
	v_cmpx_eq_u64_e64 v[8:9], v[10:11]
; %bb.27:                               ;   in Loop: Header=BB1_3 Depth=1
	ds_load_b32 v3, v24
; %bb.28:                               ;   in Loop: Header=BB1_3 Depth=1
	s_or_b32 exec_lo, exec_lo, s8
.LBB1_29:                               ;   in Loop: Header=BB1_3 Depth=1
	s_delay_alu instid0(SALU_CYCLE_1)
	s_or_b32 exec_lo, exec_lo, s1
	s_wait_dscnt 0x0
	s_barrier_signal -1
	s_barrier_wait -1
	ds_load_b32 v8, v12
	s_wait_dscnt 0x0
	v_dual_add_f32 v9, v3, v8 :: v_dual_mov_b32 v3, 0
	v_mov_b32_e32 v8, 0
	ds_store_b32 v12, v9
	s_wait_dscnt 0x0
	s_barrier_signal -1
	s_barrier_wait -1
	s_and_saveexec_b32 s1, s25
	s_cbranch_execz .LBB1_33
; %bb.30:                               ;   in Loop: Header=BB1_3 Depth=1
	ds_load_b64 v[8:9], v2
	ds_load_b64 v[10:11], v25
	s_wait_dscnt 0x0
	v_cmp_eq_u64_e32 vcc_lo, v[8:9], v[10:11]
	v_mov_b32_e32 v8, 0
	s_and_saveexec_b32 s8, vcc_lo
; %bb.31:                               ;   in Loop: Header=BB1_3 Depth=1
	ds_load_b32 v8, v26
; %bb.32:                               ;   in Loop: Header=BB1_3 Depth=1
	s_or_b32 exec_lo, exec_lo, s8
.LBB1_33:                               ;   in Loop: Header=BB1_3 Depth=1
	s_delay_alu instid0(SALU_CYCLE_1)
	s_or_b32 exec_lo, exec_lo, s1
	s_wait_dscnt 0x0
	s_barrier_signal -1
	s_barrier_wait -1
	ds_load_b32 v9, v12
	s_wait_dscnt 0x0
	v_add_f32_e32 v8, v8, v9
	ds_store_b32 v12, v8
	s_wait_dscnt 0x0
	s_barrier_signal -1
	s_barrier_wait -1
	s_and_saveexec_b32 s1, s26
	s_cbranch_execz .LBB1_37
; %bb.34:                               ;   in Loop: Header=BB1_3 Depth=1
	ds_load_b64 v[8:9], v2
	ds_load_b64 v[10:11], v27
	v_mov_b32_e32 v3, 0
	s_mov_b32 s8, exec_lo
	s_wait_dscnt 0x0
	v_cmpx_eq_u64_e64 v[8:9], v[10:11]
; %bb.35:                               ;   in Loop: Header=BB1_3 Depth=1
	ds_load_b32 v3, v28
; %bb.36:                               ;   in Loop: Header=BB1_3 Depth=1
	s_or_b32 exec_lo, exec_lo, s8
.LBB1_37:                               ;   in Loop: Header=BB1_3 Depth=1
	s_delay_alu instid0(SALU_CYCLE_1)
	s_or_b32 exec_lo, exec_lo, s1
	s_wait_dscnt 0x0
	s_barrier_signal -1
	s_barrier_wait -1
	ds_load_b32 v8, v12
	s_wait_dscnt 0x0
	v_dual_add_f32 v9, v3, v8 :: v_dual_mov_b32 v3, 0
	v_mov_b32_e32 v8, 0
	ds_store_b32 v12, v9
	s_wait_dscnt 0x0
	s_barrier_signal -1
	s_barrier_wait -1
	s_and_saveexec_b32 s1, s27
	s_cbranch_execz .LBB1_41
; %bb.38:                               ;   in Loop: Header=BB1_3 Depth=1
	ds_load_b64 v[8:9], v2
	ds_load_b64 v[10:11], v29
	s_wait_dscnt 0x0
	v_cmp_eq_u64_e32 vcc_lo, v[8:9], v[10:11]
	v_mov_b32_e32 v8, 0
	s_and_saveexec_b32 s8, vcc_lo
; %bb.39:                               ;   in Loop: Header=BB1_3 Depth=1
	ds_load_b32 v8, v30
; %bb.40:                               ;   in Loop: Header=BB1_3 Depth=1
	s_or_b32 exec_lo, exec_lo, s8
.LBB1_41:                               ;   in Loop: Header=BB1_3 Depth=1
	s_delay_alu instid0(SALU_CYCLE_1)
	s_or_b32 exec_lo, exec_lo, s1
	s_wait_dscnt 0x0
	s_barrier_signal -1
	s_barrier_wait -1
	ds_load_b32 v9, v12
	s_wait_dscnt 0x0
	v_add_f32_e32 v8, v8, v9
	ds_store_b32 v12, v8
	s_wait_dscnt 0x0
	s_barrier_signal -1
	s_barrier_wait -1
	s_and_saveexec_b32 s1, s28
	s_cbranch_execz .LBB1_45
; %bb.42:                               ;   in Loop: Header=BB1_3 Depth=1
	ds_load_b64 v[8:9], v2
	ds_load_b64 v[10:11], v31
	v_mov_b32_e32 v3, 0
	s_mov_b32 s8, exec_lo
	s_wait_dscnt 0x0
	v_cmpx_eq_u64_e64 v[8:9], v[10:11]
; %bb.43:                               ;   in Loop: Header=BB1_3 Depth=1
	ds_load_b32 v3, v32
; %bb.44:                               ;   in Loop: Header=BB1_3 Depth=1
	s_or_b32 exec_lo, exec_lo, s8
.LBB1_45:                               ;   in Loop: Header=BB1_3 Depth=1
	s_delay_alu instid0(SALU_CYCLE_1)
	s_or_b32 exec_lo, exec_lo, s1
	s_wait_dscnt 0x0
	s_barrier_signal -1
	s_barrier_wait -1
	ds_load_b32 v8, v12
	v_mov_b64_e32 v[10:11], -1
	s_wait_dscnt 0x0
	v_add_f32_e32 v3, v3, v8
	ds_store_b32 v12, v3
	s_wait_dscnt 0x0
	s_barrier_signal -1
	s_barrier_wait -1
	ds_load_b64 v[8:9], v2
	s_and_saveexec_b32 s1, s0
; %bb.46:                               ;   in Loop: Header=BB1_3 Depth=1
	ds_load_b64 v[10:11], v2 offset:8
; %bb.47:                               ;   in Loop: Header=BB1_3 Depth=1
	s_or_b32 exec_lo, exec_lo, s1
	s_wait_dscnt 0x0
	v_cmp_ne_u64_e32 vcc_lo, v[8:9], v[10:11]
	v_cmp_lt_i64_e64 s1, -1, v[8:9]
	s_and_b32 s8, s1, vcc_lo
	s_delay_alu instid0(SALU_CYCLE_1)
	s_and_saveexec_b32 s1, s8
	s_cbranch_execz .LBB1_2
; %bb.48:                               ;   in Loop: Header=BB1_3 Depth=1
	ds_load_b32 v3, v12
	s_and_b32 vcc_lo, exec_lo, s18
	s_mov_b32 s8, -1
	s_cbranch_vccz .LBB1_50
; %bb.49:                               ;   in Loop: Header=BB1_3 Depth=1
	v_mul_u64_e32 v[10:11], s[10:11], v[8:9]
	s_mov_b32 s8, 0
	s_delay_alu instid0(VALU_DEP_1)
	v_lshl_add_u64 v[10:11], v[10:11], 2, s[2:3]
	global_load_b32 v33, v[10:11], off
	s_wait_loadcnt_dscnt 0x0
	v_add_f32_e32 v33, v3, v33
	global_store_b32 v[10:11], v33, off
.LBB1_50:                               ;   in Loop: Header=BB1_3 Depth=1
	s_and_not1_b32 vcc_lo, exec_lo, s8
	s_cbranch_vccnz .LBB1_2
; %bb.51:                               ;   in Loop: Header=BB1_3 Depth=1
	v_lshl_add_u64 v[8:9], v[8:9], 2, s[4:5]
	global_load_b32 v10, v[8:9], off
	s_wait_loadcnt_dscnt 0x0
	v_add_f32_e32 v3, v3, v10
	global_store_b32 v[8:9], v3, off
	s_branch .LBB1_2
.LBB1_52:
	s_endpgm
	.section	.rodata,"a",@progbits
	.p2align	6, 0x0
	.amdhsa_kernel _ZN9rocsparseL28coommnn_general_block_reduceILj1024EflfEEvT1_S1_PKS1_PKT0_PT2_ll16rocsparse_order_
		.amdhsa_group_segment_fixed_size 12288
		.amdhsa_private_segment_fixed_size 0
		.amdhsa_kernarg_size 60
		.amdhsa_user_sgpr_count 2
		.amdhsa_user_sgpr_dispatch_ptr 0
		.amdhsa_user_sgpr_queue_ptr 0
		.amdhsa_user_sgpr_kernarg_segment_ptr 1
		.amdhsa_user_sgpr_dispatch_id 0
		.amdhsa_user_sgpr_kernarg_preload_length 0
		.amdhsa_user_sgpr_kernarg_preload_offset 0
		.amdhsa_user_sgpr_private_segment_size 0
		.amdhsa_wavefront_size32 1
		.amdhsa_uses_dynamic_stack 0
		.amdhsa_enable_private_segment 0
		.amdhsa_system_sgpr_workgroup_id_x 1
		.amdhsa_system_sgpr_workgroup_id_y 0
		.amdhsa_system_sgpr_workgroup_id_z 1
		.amdhsa_system_sgpr_workgroup_info 0
		.amdhsa_system_vgpr_workitem_id 0
		.amdhsa_next_free_vgpr 34
		.amdhsa_next_free_sgpr 40
		.amdhsa_named_barrier_count 0
		.amdhsa_reserve_vcc 1
		.amdhsa_float_round_mode_32 0
		.amdhsa_float_round_mode_16_64 0
		.amdhsa_float_denorm_mode_32 3
		.amdhsa_float_denorm_mode_16_64 3
		.amdhsa_fp16_overflow 0
		.amdhsa_memory_ordered 1
		.amdhsa_forward_progress 1
		.amdhsa_inst_pref_size 17
		.amdhsa_round_robin_scheduling 0
		.amdhsa_exception_fp_ieee_invalid_op 0
		.amdhsa_exception_fp_denorm_src 0
		.amdhsa_exception_fp_ieee_div_zero 0
		.amdhsa_exception_fp_ieee_overflow 0
		.amdhsa_exception_fp_ieee_underflow 0
		.amdhsa_exception_fp_ieee_inexact 0
		.amdhsa_exception_int_div_zero 0
	.end_amdhsa_kernel
	.section	.text._ZN9rocsparseL28coommnn_general_block_reduceILj1024EflfEEvT1_S1_PKS1_PKT0_PT2_ll16rocsparse_order_,"axG",@progbits,_ZN9rocsparseL28coommnn_general_block_reduceILj1024EflfEEvT1_S1_PKS1_PKT0_PT2_ll16rocsparse_order_,comdat
.Lfunc_end1:
	.size	_ZN9rocsparseL28coommnn_general_block_reduceILj1024EflfEEvT1_S1_PKS1_PKT0_PT2_ll16rocsparse_order_, .Lfunc_end1-_ZN9rocsparseL28coommnn_general_block_reduceILj1024EflfEEvT1_S1_PKS1_PKT0_PT2_ll16rocsparse_order_
                                        ; -- End function
	.set _ZN9rocsparseL28coommnn_general_block_reduceILj1024EflfEEvT1_S1_PKS1_PKT0_PT2_ll16rocsparse_order_.num_vgpr, 34
	.set _ZN9rocsparseL28coommnn_general_block_reduceILj1024EflfEEvT1_S1_PKS1_PKT0_PT2_ll16rocsparse_order_.num_agpr, 0
	.set _ZN9rocsparseL28coommnn_general_block_reduceILj1024EflfEEvT1_S1_PKS1_PKT0_PT2_ll16rocsparse_order_.numbered_sgpr, 40
	.set _ZN9rocsparseL28coommnn_general_block_reduceILj1024EflfEEvT1_S1_PKS1_PKT0_PT2_ll16rocsparse_order_.num_named_barrier, 0
	.set _ZN9rocsparseL28coommnn_general_block_reduceILj1024EflfEEvT1_S1_PKS1_PKT0_PT2_ll16rocsparse_order_.private_seg_size, 0
	.set _ZN9rocsparseL28coommnn_general_block_reduceILj1024EflfEEvT1_S1_PKS1_PKT0_PT2_ll16rocsparse_order_.uses_vcc, 1
	.set _ZN9rocsparseL28coommnn_general_block_reduceILj1024EflfEEvT1_S1_PKS1_PKT0_PT2_ll16rocsparse_order_.uses_flat_scratch, 0
	.set _ZN9rocsparseL28coommnn_general_block_reduceILj1024EflfEEvT1_S1_PKS1_PKT0_PT2_ll16rocsparse_order_.has_dyn_sized_stack, 0
	.set _ZN9rocsparseL28coommnn_general_block_reduceILj1024EflfEEvT1_S1_PKS1_PKT0_PT2_ll16rocsparse_order_.has_recursion, 0
	.set _ZN9rocsparseL28coommnn_general_block_reduceILj1024EflfEEvT1_S1_PKS1_PKT0_PT2_ll16rocsparse_order_.has_indirect_call, 0
	.section	.AMDGPU.csdata,"",@progbits
; Kernel info:
; codeLenInByte = 2100
; TotalNumSgprs: 42
; NumVgprs: 34
; ScratchSize: 0
; MemoryBound: 0
; FloatMode: 240
; IeeeMode: 1
; LDSByteSize: 12288 bytes/workgroup (compile time only)
; SGPRBlocks: 0
; VGPRBlocks: 2
; NumSGPRsForWavesPerEU: 42
; NumVGPRsForWavesPerEU: 34
; NamedBarCnt: 0
; Occupancy: 16
; WaveLimiterHint : 0
; COMPUTE_PGM_RSRC2:SCRATCH_EN: 0
; COMPUTE_PGM_RSRC2:USER_SGPR: 2
; COMPUTE_PGM_RSRC2:TRAP_HANDLER: 0
; COMPUTE_PGM_RSRC2:TGID_X_EN: 1
; COMPUTE_PGM_RSRC2:TGID_Y_EN: 0
; COMPUTE_PGM_RSRC2:TGID_Z_EN: 1
; COMPUTE_PGM_RSRC2:TIDIG_COMP_CNT: 0
	.section	.text._ZN9rocsparseL28coommnn_general_block_reduceILj1024EdidEEvT1_S1_PKS1_PKT0_PT2_ll16rocsparse_order_,"axG",@progbits,_ZN9rocsparseL28coommnn_general_block_reduceILj1024EdidEEvT1_S1_PKS1_PKT0_PT2_ll16rocsparse_order_,comdat
	.globl	_ZN9rocsparseL28coommnn_general_block_reduceILj1024EdidEEvT1_S1_PKS1_PKT0_PT2_ll16rocsparse_order_ ; -- Begin function _ZN9rocsparseL28coommnn_general_block_reduceILj1024EdidEEvT1_S1_PKS1_PKT0_PT2_ll16rocsparse_order_
	.p2align	8
	.type	_ZN9rocsparseL28coommnn_general_block_reduceILj1024EdidEEvT1_S1_PKS1_PKT0_PT2_ll16rocsparse_order_,@function
_ZN9rocsparseL28coommnn_general_block_reduceILj1024EdidEEvT1_S1_PKS1_PKT0_PT2_ll16rocsparse_order_: ; @_ZN9rocsparseL28coommnn_general_block_reduceILj1024EdidEEvT1_S1_PKS1_PKT0_PT2_ll16rocsparse_order_
; %bb.0:
	s_load_b64 s[2:3], s[0:1], 0x0
	s_wait_kmcnt 0x0
	s_cmp_lt_i32 s3, 1
	s_cbranch_scc1 .LBB2_52
; %bb.1:
	s_bfe_u32 s12, ttmp6, 0x4000c
	s_bfe_u32 s14, ttmp6, 0x40014
	s_add_co_i32 s12, s12, 1
	s_and_b32 s13, ttmp6, 15
	s_mul_i32 s12, ttmp9, s12
	s_lshr_b32 s15, ttmp7, 16
	s_add_co_i32 s14, s14, 1
	s_add_co_i32 s17, s13, s12
	s_mul_i32 s12, s15, s14
	s_bfe_u32 s13, ttmp6, 0x40008
	s_getreg_b32 s14, hwreg(HW_REG_IB_STS2, 6, 4)
	s_add_co_i32 s16, s13, s12
	s_cmp_eq_u32 s14, 0
	s_load_b256 s[4:11], s[0:1], 0x8
	s_cselect_b32 s16, s15, s16
	s_load_b96 s[12:14], s[0:1], 0x28
	s_wait_xcnt 0x0
	s_mul_i32 s0, s2, s16
	s_cselect_b32 s26, ttmp9, s17
	v_sub_co_u32 v3, s15, v0, 2
	s_add_co_i32 s1, s0, s26
	v_sub_co_u32 v2, s0, v0, 1
	s_xor_b32 s2, s0, -1
	v_lshl_add_u32 v11, v3, 2, 0x2000
	v_sub_co_u32 v3, s19, v0, 8
	v_lshl_add_u32 v9, v2, 2, 0x2000
	v_sub_co_u32 v2, s0, v0, 4
	s_xor_b32 s18, s0, -1
	v_lshl_add_u32 v15, v3, 2, 0x2000
	v_sub_co_u32 v3, s21, v0, 32
	v_lshl_add_u32 v13, v2, 2, 0x2000
	v_sub_co_u32 v2, s0, v0, 16
	s_xor_b32 s20, s0, -1
	v_lshl_add_u32 v19, v3, 2, 0x2000
	v_subrev_co_u32 v3, s23, 0x80, v0
	v_lshl_add_u32 v17, v2, 2, 0x2000
	v_sub_co_u32 v2, s0, v0, 64
	s_xor_b32 s22, s0, -1
	v_lshl_add_u32 v23, v3, 2, 0x2000
	v_subrev_co_u32 v3, s25, 0x200, v0
	v_lshl_add_u32 v21, v2, 2, 0x2000
	v_subrev_co_u32 v2, s0, 0x100, v0
	s_xor_b32 s15, s15, -1
	s_xor_b32 s19, s19, -1
	;; [unrolled: 1-line block ×6, first 2 shown]
	s_wait_kmcnt 0x0
	s_cmp_lg_u32 s14, 1
	v_mad_u32 v29, s3, s16, v0
	v_mad_u32 v30, s1, s3, v0
	v_lshlrev_b32_e32 v8, 3, v0
	s_cselect_b32 s14, -1, 0
	s_ashr_i32 s27, s26, 31
	s_mov_b32 s17, 0
	s_lshl_b64 s[28:29], s[26:27], 3
	s_mul_u64 s[26:27], s[10:11], s[26:27]
	s_mul_u64 s[12:13], s[12:13], s[16:17]
	s_lshl_b64 s[26:27], s[26:27], 3
	v_lshl_or_b32 v1, v0, 2, 0x2000
	v_lshl_add_u32 v25, v2, 2, 0x2000
	v_lshl_add_u32 v27, v3, 2, 0x2000
	v_cmp_ne_u32_e64 s0, 0x3ff, v0
	v_dual_mov_b32 v3, 0 :: v_dual_add_nc_u32 v10, -8, v8
	v_add_nc_u32_e32 v12, -16, v8
	v_subrev_nc_u32_e32 v14, 32, v8
	v_subrev_nc_u32_e32 v16, 64, v8
	v_add_nc_u32_e32 v18, 0xffffff80, v8
	v_add_nc_u32_e32 v20, 0xffffff00, v8
	;; [unrolled: 1-line block ×6, first 2 shown]
	s_add_nc_u64 s[28:29], s[8:9], s[28:29]
	s_lshl_b64 s[12:13], s[12:13], 3
	s_add_nc_u64 s[26:27], s[8:9], s[26:27]
	s_add_nc_u64 s[8:9], s[28:29], s[12:13]
	;; [unrolled: 1-line block ×3, first 2 shown]
	s_branch .LBB2_3
.LBB2_2:                                ;   in Loop: Header=BB2_3 Depth=1
	s_wait_xcnt 0x0
	s_or_b32 exec_lo, exec_lo, s1
	s_addk_co_i32 s17, 0x400
	s_wait_storecnt_dscnt 0x0
	s_cmp_ge_i32 s17, s3
	s_barrier_signal -1
	s_barrier_wait -1
	s_cbranch_scc1 .LBB2_52
.LBB2_3:                                ; =>This Inner Loop Header: Depth=1
	v_add_nc_u32_e32 v2, s17, v0
	v_mov_b64_e32 v[4:5], 0
	v_mov_b64_e32 v[6:7], 0
	s_delay_alu instid0(VALU_DEP_3)
	v_cmp_gt_i32_e32 vcc_lo, s3, v2
	v_mov_b32_e32 v2, -1
	s_and_saveexec_b32 s1, vcc_lo
	s_cbranch_execz .LBB2_5
; %bb.4:                                ;   in Loop: Header=BB2_3 Depth=1
	v_dual_add_nc_u32 v31, s17, v29 :: v_dual_add_nc_u32 v32, s17, v30
	global_load_b32 v2, v31, s[4:5] scale_offset
	global_load_b64 v[6:7], v32, s[6:7] scale_offset
.LBB2_5:                                ;   in Loop: Header=BB2_3 Depth=1
	s_wait_xcnt 0x0
	s_or_b32 exec_lo, exec_lo, s1
	s_wait_loadcnt 0x1
	ds_store_b32 v1, v2
	s_wait_loadcnt 0x0
	ds_store_b64 v8, v[6:7]
	s_wait_dscnt 0x0
	s_barrier_signal -1
	s_barrier_wait -1
	s_and_saveexec_b32 s1, s2
	s_cbranch_execz .LBB2_9
; %bb.6:                                ;   in Loop: Header=BB2_3 Depth=1
	ds_load_2addr_b32 v[6:7], v9 offset1:1
	v_mov_b64_e32 v[4:5], 0
	s_mov_b32 s16, exec_lo
	s_wait_dscnt 0x0
	v_cmpx_eq_u32_e64 v7, v6
; %bb.7:                                ;   in Loop: Header=BB2_3 Depth=1
	ds_load_b64 v[4:5], v10
; %bb.8:                                ;   in Loop: Header=BB2_3 Depth=1
	s_or_b32 exec_lo, exec_lo, s16
.LBB2_9:                                ;   in Loop: Header=BB2_3 Depth=1
	s_delay_alu instid0(SALU_CYCLE_1)
	s_or_b32 exec_lo, exec_lo, s1
	s_wait_dscnt 0x0
	s_barrier_signal -1
	s_barrier_wait -1
	ds_load_b64 v[6:7], v8
	s_wait_dscnt 0x0
	v_add_f64_e32 v[32:33], v[4:5], v[6:7]
	v_mov_b64_e32 v[4:5], 0
	v_mov_b64_e32 v[6:7], 0
	ds_store_b64 v8, v[32:33]
	s_wait_dscnt 0x0
	s_barrier_signal -1
	s_barrier_wait -1
	s_and_saveexec_b32 s1, s15
	s_cbranch_execz .LBB2_13
; %bb.10:                               ;   in Loop: Header=BB2_3 Depth=1
	ds_load_b32 v2, v1
	ds_load_b32 v31, v11
	v_mov_b64_e32 v[6:7], 0
	s_mov_b32 s16, exec_lo
	s_wait_dscnt 0x0
	v_cmpx_eq_u32_e64 v2, v31
; %bb.11:                               ;   in Loop: Header=BB2_3 Depth=1
	ds_load_b64 v[6:7], v12
; %bb.12:                               ;   in Loop: Header=BB2_3 Depth=1
	s_or_b32 exec_lo, exec_lo, s16
.LBB2_13:                               ;   in Loop: Header=BB2_3 Depth=1
	s_delay_alu instid0(SALU_CYCLE_1)
	s_or_b32 exec_lo, exec_lo, s1
	s_wait_dscnt 0x0
	s_barrier_signal -1
	s_barrier_wait -1
	ds_load_b64 v[32:33], v8
	s_wait_dscnt 0x0
	v_add_f64_e32 v[6:7], v[6:7], v[32:33]
	ds_store_b64 v8, v[6:7]
	s_wait_dscnt 0x0
	s_barrier_signal -1
	s_barrier_wait -1
	s_and_saveexec_b32 s1, s18
	s_cbranch_execz .LBB2_17
; %bb.14:                               ;   in Loop: Header=BB2_3 Depth=1
	ds_load_b32 v2, v1
	ds_load_b32 v6, v13
	v_mov_b64_e32 v[4:5], 0
	s_mov_b32 s16, exec_lo
	s_wait_dscnt 0x0
	v_cmpx_eq_u32_e64 v2, v6
; %bb.15:                               ;   in Loop: Header=BB2_3 Depth=1
	ds_load_b64 v[4:5], v14
; %bb.16:                               ;   in Loop: Header=BB2_3 Depth=1
	s_or_b32 exec_lo, exec_lo, s16
.LBB2_17:                               ;   in Loop: Header=BB2_3 Depth=1
	s_delay_alu instid0(SALU_CYCLE_1)
	s_or_b32 exec_lo, exec_lo, s1
	s_wait_dscnt 0x0
	s_barrier_signal -1
	s_barrier_wait -1
	ds_load_b64 v[6:7], v8
	s_wait_dscnt 0x0
	v_add_f64_e32 v[32:33], v[4:5], v[6:7]
	v_mov_b64_e32 v[4:5], 0
	v_mov_b64_e32 v[6:7], 0
	ds_store_b64 v8, v[32:33]
	s_wait_dscnt 0x0
	s_barrier_signal -1
	s_barrier_wait -1
	s_and_saveexec_b32 s1, s19
	s_cbranch_execz .LBB2_21
; %bb.18:                               ;   in Loop: Header=BB2_3 Depth=1
	ds_load_b32 v2, v1
	ds_load_b32 v31, v15
	v_mov_b64_e32 v[6:7], 0
	s_mov_b32 s16, exec_lo
	s_wait_dscnt 0x0
	v_cmpx_eq_u32_e64 v2, v31
; %bb.19:                               ;   in Loop: Header=BB2_3 Depth=1
	ds_load_b64 v[6:7], v16
; %bb.20:                               ;   in Loop: Header=BB2_3 Depth=1
	s_or_b32 exec_lo, exec_lo, s16
.LBB2_21:                               ;   in Loop: Header=BB2_3 Depth=1
	s_delay_alu instid0(SALU_CYCLE_1)
	s_or_b32 exec_lo, exec_lo, s1
	s_wait_dscnt 0x0
	s_barrier_signal -1
	s_barrier_wait -1
	ds_load_b64 v[32:33], v8
	s_wait_dscnt 0x0
	v_add_f64_e32 v[6:7], v[6:7], v[32:33]
	ds_store_b64 v8, v[6:7]
	s_wait_dscnt 0x0
	s_barrier_signal -1
	s_barrier_wait -1
	s_and_saveexec_b32 s1, s20
	s_cbranch_execz .LBB2_25
; %bb.22:                               ;   in Loop: Header=BB2_3 Depth=1
	ds_load_b32 v2, v1
	ds_load_b32 v6, v17
	v_mov_b64_e32 v[4:5], 0
	s_mov_b32 s16, exec_lo
	s_wait_dscnt 0x0
	v_cmpx_eq_u32_e64 v2, v6
; %bb.23:                               ;   in Loop: Header=BB2_3 Depth=1
	ds_load_b64 v[4:5], v18
; %bb.24:                               ;   in Loop: Header=BB2_3 Depth=1
	s_or_b32 exec_lo, exec_lo, s16
.LBB2_25:                               ;   in Loop: Header=BB2_3 Depth=1
	;; [unrolled: 54-line block ×4, first 2 shown]
	s_delay_alu instid0(SALU_CYCLE_1)
	s_or_b32 exec_lo, exec_lo, s1
	s_wait_dscnt 0x0
	s_barrier_signal -1
	s_barrier_wait -1
	ds_load_b64 v[6:7], v8
	s_wait_dscnt 0x0
	v_add_f64_e32 v[6:7], v[4:5], v[6:7]
	v_mov_b64_e32 v[4:5], 0
	ds_store_b64 v8, v[6:7]
	s_wait_dscnt 0x0
	s_barrier_signal -1
	s_barrier_wait -1
	s_and_saveexec_b32 s1, s25
	s_cbranch_execz .LBB2_45
; %bb.42:                               ;   in Loop: Header=BB2_3 Depth=1
	ds_load_b32 v2, v1
	ds_load_b32 v6, v27
	v_mov_b64_e32 v[4:5], 0
	s_mov_b32 s16, exec_lo
	s_wait_dscnt 0x0
	v_cmpx_eq_u32_e64 v2, v6
; %bb.43:                               ;   in Loop: Header=BB2_3 Depth=1
	ds_load_b64 v[4:5], v28
; %bb.44:                               ;   in Loop: Header=BB2_3 Depth=1
	s_or_b32 exec_lo, exec_lo, s16
.LBB2_45:                               ;   in Loop: Header=BB2_3 Depth=1
	s_delay_alu instid0(SALU_CYCLE_1)
	s_or_b32 exec_lo, exec_lo, s1
	s_wait_dscnt 0x0
	s_barrier_signal -1
	s_barrier_wait -1
	ds_load_b64 v[6:7], v8
	s_wait_dscnt 0x0
	v_add_f64_e32 v[4:5], v[4:5], v[6:7]
	ds_store_b64 v8, v[4:5]
	s_wait_dscnt 0x0
	s_barrier_signal -1
	s_barrier_wait -1
	ds_load_b32 v2, v1
	v_mov_b32_e32 v4, -1
	s_and_saveexec_b32 s1, s0
; %bb.46:                               ;   in Loop: Header=BB2_3 Depth=1
	ds_load_b32 v4, v1 offset:4
; %bb.47:                               ;   in Loop: Header=BB2_3 Depth=1
	s_or_b32 exec_lo, exec_lo, s1
	s_wait_dscnt 0x0
	v_cmp_ne_u32_e32 vcc_lo, v2, v4
	v_cmp_lt_i32_e64 s1, -1, v2
	s_and_b32 s16, s1, vcc_lo
	s_delay_alu instid0(SALU_CYCLE_1)
	s_and_saveexec_b32 s1, s16
	s_cbranch_execz .LBB2_2
; %bb.48:                               ;   in Loop: Header=BB2_3 Depth=1
	ds_load_b64 v[4:5], v8
	s_and_b32 vcc_lo, exec_lo, s14
	s_mov_b32 s16, -1
	s_cbranch_vccz .LBB2_50
; %bb.49:                               ;   in Loop: Header=BB2_3 Depth=1
	v_mul_u64_e32 v[6:7], s[10:11], v[2:3]
	s_mov_b32 s16, 0
	s_delay_alu instid0(VALU_DEP_1)
	v_lshl_add_u64 v[6:7], v[6:7], 3, s[8:9]
	global_load_b64 v[32:33], v[6:7], off
	s_wait_loadcnt_dscnt 0x0
	v_add_f64_e32 v[32:33], v[4:5], v[32:33]
	global_store_b64 v[6:7], v[32:33], off
.LBB2_50:                               ;   in Loop: Header=BB2_3 Depth=1
	s_and_not1_b32 vcc_lo, exec_lo, s16
	s_cbranch_vccnz .LBB2_2
; %bb.51:                               ;   in Loop: Header=BB2_3 Depth=1
	s_wait_xcnt 0x0
	v_lshl_add_u64 v[6:7], v[2:3], 3, s[12:13]
	global_load_b64 v[32:33], v[6:7], off
	s_wait_loadcnt_dscnt 0x0
	v_add_f64_e32 v[4:5], v[4:5], v[32:33]
	global_store_b64 v[6:7], v[4:5], off
	s_branch .LBB2_2
.LBB2_52:
	s_endpgm
	.section	.rodata,"a",@progbits
	.p2align	6, 0x0
	.amdhsa_kernel _ZN9rocsparseL28coommnn_general_block_reduceILj1024EdidEEvT1_S1_PKS1_PKT0_PT2_ll16rocsparse_order_
		.amdhsa_group_segment_fixed_size 12288
		.amdhsa_private_segment_fixed_size 0
		.amdhsa_kernarg_size 52
		.amdhsa_user_sgpr_count 2
		.amdhsa_user_sgpr_dispatch_ptr 0
		.amdhsa_user_sgpr_queue_ptr 0
		.amdhsa_user_sgpr_kernarg_segment_ptr 1
		.amdhsa_user_sgpr_dispatch_id 0
		.amdhsa_user_sgpr_kernarg_preload_length 0
		.amdhsa_user_sgpr_kernarg_preload_offset 0
		.amdhsa_user_sgpr_private_segment_size 0
		.amdhsa_wavefront_size32 1
		.amdhsa_uses_dynamic_stack 0
		.amdhsa_enable_private_segment 0
		.amdhsa_system_sgpr_workgroup_id_x 1
		.amdhsa_system_sgpr_workgroup_id_y 0
		.amdhsa_system_sgpr_workgroup_id_z 1
		.amdhsa_system_sgpr_workgroup_info 0
		.amdhsa_system_vgpr_workitem_id 0
		.amdhsa_next_free_vgpr 34
		.amdhsa_next_free_sgpr 30
		.amdhsa_named_barrier_count 0
		.amdhsa_reserve_vcc 1
		.amdhsa_float_round_mode_32 0
		.amdhsa_float_round_mode_16_64 0
		.amdhsa_float_denorm_mode_32 3
		.amdhsa_float_denorm_mode_16_64 3
		.amdhsa_fp16_overflow 0
		.amdhsa_memory_ordered 1
		.amdhsa_forward_progress 1
		.amdhsa_inst_pref_size 16
		.amdhsa_round_robin_scheduling 0
		.amdhsa_exception_fp_ieee_invalid_op 0
		.amdhsa_exception_fp_denorm_src 0
		.amdhsa_exception_fp_ieee_div_zero 0
		.amdhsa_exception_fp_ieee_overflow 0
		.amdhsa_exception_fp_ieee_underflow 0
		.amdhsa_exception_fp_ieee_inexact 0
		.amdhsa_exception_int_div_zero 0
	.end_amdhsa_kernel
	.section	.text._ZN9rocsparseL28coommnn_general_block_reduceILj1024EdidEEvT1_S1_PKS1_PKT0_PT2_ll16rocsparse_order_,"axG",@progbits,_ZN9rocsparseL28coommnn_general_block_reduceILj1024EdidEEvT1_S1_PKS1_PKT0_PT2_ll16rocsparse_order_,comdat
.Lfunc_end2:
	.size	_ZN9rocsparseL28coommnn_general_block_reduceILj1024EdidEEvT1_S1_PKS1_PKT0_PT2_ll16rocsparse_order_, .Lfunc_end2-_ZN9rocsparseL28coommnn_general_block_reduceILj1024EdidEEvT1_S1_PKS1_PKT0_PT2_ll16rocsparse_order_
                                        ; -- End function
	.set _ZN9rocsparseL28coommnn_general_block_reduceILj1024EdidEEvT1_S1_PKS1_PKT0_PT2_ll16rocsparse_order_.num_vgpr, 34
	.set _ZN9rocsparseL28coommnn_general_block_reduceILj1024EdidEEvT1_S1_PKS1_PKT0_PT2_ll16rocsparse_order_.num_agpr, 0
	.set _ZN9rocsparseL28coommnn_general_block_reduceILj1024EdidEEvT1_S1_PKS1_PKT0_PT2_ll16rocsparse_order_.numbered_sgpr, 30
	.set _ZN9rocsparseL28coommnn_general_block_reduceILj1024EdidEEvT1_S1_PKS1_PKT0_PT2_ll16rocsparse_order_.num_named_barrier, 0
	.set _ZN9rocsparseL28coommnn_general_block_reduceILj1024EdidEEvT1_S1_PKS1_PKT0_PT2_ll16rocsparse_order_.private_seg_size, 0
	.set _ZN9rocsparseL28coommnn_general_block_reduceILj1024EdidEEvT1_S1_PKS1_PKT0_PT2_ll16rocsparse_order_.uses_vcc, 1
	.set _ZN9rocsparseL28coommnn_general_block_reduceILj1024EdidEEvT1_S1_PKS1_PKT0_PT2_ll16rocsparse_order_.uses_flat_scratch, 0
	.set _ZN9rocsparseL28coommnn_general_block_reduceILj1024EdidEEvT1_S1_PKS1_PKT0_PT2_ll16rocsparse_order_.has_dyn_sized_stack, 0
	.set _ZN9rocsparseL28coommnn_general_block_reduceILj1024EdidEEvT1_S1_PKS1_PKT0_PT2_ll16rocsparse_order_.has_recursion, 0
	.set _ZN9rocsparseL28coommnn_general_block_reduceILj1024EdidEEvT1_S1_PKS1_PKT0_PT2_ll16rocsparse_order_.has_indirect_call, 0
	.section	.AMDGPU.csdata,"",@progbits
; Kernel info:
; codeLenInByte = 2028
; TotalNumSgprs: 32
; NumVgprs: 34
; ScratchSize: 0
; MemoryBound: 0
; FloatMode: 240
; IeeeMode: 1
; LDSByteSize: 12288 bytes/workgroup (compile time only)
; SGPRBlocks: 0
; VGPRBlocks: 2
; NumSGPRsForWavesPerEU: 32
; NumVGPRsForWavesPerEU: 34
; NamedBarCnt: 0
; Occupancy: 16
; WaveLimiterHint : 0
; COMPUTE_PGM_RSRC2:SCRATCH_EN: 0
; COMPUTE_PGM_RSRC2:USER_SGPR: 2
; COMPUTE_PGM_RSRC2:TRAP_HANDLER: 0
; COMPUTE_PGM_RSRC2:TGID_X_EN: 1
; COMPUTE_PGM_RSRC2:TGID_Y_EN: 0
; COMPUTE_PGM_RSRC2:TGID_Z_EN: 1
; COMPUTE_PGM_RSRC2:TIDIG_COMP_CNT: 0
	.section	.text._ZN9rocsparseL28coommnn_general_block_reduceILj1024EdldEEvT1_S1_PKS1_PKT0_PT2_ll16rocsparse_order_,"axG",@progbits,_ZN9rocsparseL28coommnn_general_block_reduceILj1024EdldEEvT1_S1_PKS1_PKT0_PT2_ll16rocsparse_order_,comdat
	.globl	_ZN9rocsparseL28coommnn_general_block_reduceILj1024EdldEEvT1_S1_PKS1_PKT0_PT2_ll16rocsparse_order_ ; -- Begin function _ZN9rocsparseL28coommnn_general_block_reduceILj1024EdldEEvT1_S1_PKS1_PKT0_PT2_ll16rocsparse_order_
	.p2align	8
	.type	_ZN9rocsparseL28coommnn_general_block_reduceILj1024EdldEEvT1_S1_PKS1_PKT0_PT2_ll16rocsparse_order_,@function
_ZN9rocsparseL28coommnn_general_block_reduceILj1024EdldEEvT1_S1_PKS1_PKT0_PT2_ll16rocsparse_order_: ; @_ZN9rocsparseL28coommnn_general_block_reduceILj1024EdldEEvT1_S1_PKS1_PKT0_PT2_ll16rocsparse_order_
; %bb.0:
	s_load_b128 s[12:15], s[0:1], 0x0
	s_wait_kmcnt 0x0
	v_cmp_lt_i64_e64 s2, s[14:15], 1
	s_and_b32 vcc_lo, exec_lo, s2
	s_cbranch_vccnz .LBB3_52
; %bb.1:
	s_bfe_u32 s2, ttmp6, 0x40014
	s_lshr_b32 s19, ttmp7, 16
	s_add_co_i32 s2, s2, 1
	s_clause 0x1
	s_load_b256 s[4:11], s[0:1], 0x10
	s_load_b96 s[16:18], s[0:1], 0x30
	s_wait_xcnt 0x0
	s_mul_i32 s0, s19, s2
	s_bfe_u32 s2, ttmp6, 0x4000c
	s_bfe_u32 s1, ttmp6, 0x40008
	s_add_co_i32 s2, s2, 1
	s_add_co_i32 s1, s1, s0
	s_and_b32 s0, ttmp6, 15
	s_mul_i32 s2, ttmp9, s2
	s_getreg_b32 s3, hwreg(HW_REG_IB_STS2, 6, 4)
	s_add_co_i32 s0, s0, s2
	s_cmp_eq_u32 s3, 0
	s_mov_b32 s3, 0
	s_cselect_b32 s2, ttmp9, s0
	v_sub_co_u32 v3, s0, v0, 1
	s_cselect_b32 s30, s19, s1
	s_xor_b32 s19, s0, -1
	v_sub_co_u32 v4, s0, v0, 2
	v_lshl_add_u32 v16, v3, 3, 0x2000
	s_xor_b32 s20, s0, -1
	v_sub_co_u32 v3, s0, v0, 4
	s_delay_alu instid0(VALU_DEP_3) | instskip(SKIP_2) | instid1(VALU_DEP_3)
	v_lshl_add_u32 v18, v4, 3, 0x2000
	s_xor_b32 s21, s0, -1
	v_sub_co_u32 v4, s0, v0, 8
	v_lshl_add_u32 v20, v3, 3, 0x2000
	s_xor_b32 s22, s0, -1
	v_sub_co_u32 v3, s0, v0, 16
	s_delay_alu instid0(VALU_DEP_3) | instskip(SKIP_2) | instid1(VALU_DEP_3)
	v_lshl_add_u32 v22, v4, 3, 0x2000
	s_xor_b32 s23, s0, -1
	v_sub_co_u32 v4, s0, v0, 32
	v_lshl_add_u32 v24, v3, 3, 0x2000
	s_xor_b32 s24, s0, -1
	v_sub_co_u32 v3, s0, v0, 64
	s_delay_alu instid0(VALU_DEP_3) | instskip(SKIP_2) | instid1(VALU_DEP_3)
	v_lshl_add_u32 v26, v4, 3, 0x2000
	s_xor_b32 s25, s0, -1
	v_subrev_co_u32 v4, s0, 0x80, v0
	v_lshl_add_u32 v28, v3, 3, 0x2000
	s_xor_b32 s26, s0, -1
	v_subrev_co_u32 v3, s0, 0x100, v0
	s_delay_alu instid0(VALU_DEP_3)
	v_lshl_add_u32 v30, v4, 3, 0x2000
	s_xor_b32 s27, s0, -1
	v_subrev_co_u32 v4, s0, 0x200, v0
	s_mov_b32 s31, s3
	s_lshl_b64 s[34:35], s[2:3], 3
	s_xor_b32 s28, s0, -1
	v_dual_mov_b32 v1, 0 :: v_dual_lshlrev_b32 v2, 3, v0
	s_wait_kmcnt 0x0
	s_cmp_lg_u32 s18, 1
	s_mul_u64 s[12:13], s[12:13], s[30:31]
	s_cselect_b32 s18, -1, 0
	s_lshl_b64 s[12:13], s[12:13], 3
	s_mul_u64 s[16:17], s[16:17], s[30:31]
	s_mul_u64 s[30:31], s[14:15], s[30:31]
	s_add_nc_u64 s[12:13], s[12:13], s[34:35]
	v_lshl_add_u32 v32, v3, 3, 0x2000
	v_mov_b32_e32 v3, v1
	s_lshl_b64 s[30:31], s[30:31], 3
	s_mul_u64 s[12:13], s[14:15], s[12:13]
	s_add_nc_u64 s[4:5], s[4:5], s[30:31]
	s_add_nc_u64 s[6:7], s[6:7], s[12:13]
	s_mul_u64 s[2:3], s[10:11], s[2:3]
	v_lshl_add_u32 v34, v4, 3, 0x2000
	v_add_nc_u64_e32 v[4:5], s[4:5], v[2:3]
	v_add_nc_u64_e32 v[6:7], s[6:7], v[2:3]
	s_lshl_b64 s[2:3], s[2:3], 3
	v_or_b32_e32 v14, 0x2000, v2
	v_dual_add_nc_u32 v15, -8, v2 :: v_dual_add_nc_u32 v17, -16, v2
	v_subrev_nc_u32_e32 v19, 32, v2
	v_subrev_nc_u32_e32 v21, 64, v2
	v_add_nc_u32_e32 v23, 0xffffff80, v2
	v_add_nc_u32_e32 v25, 0xffffff00, v2
	;; [unrolled: 1-line block ×6, first 2 shown]
	v_cmp_ne_u32_e64 s0, 0x3ff, v0
	s_add_nc_u64 s[36:37], s[8:9], s[34:35]
	s_lshl_b64 s[4:5], s[16:17], 3
	s_add_nc_u64 s[6:7], s[8:9], s[2:3]
	s_add_nc_u64 s[2:3], s[36:37], s[4:5]
	;; [unrolled: 1-line block ×3, first 2 shown]
	s_mov_b64 s[6:7], 0
	s_branch .LBB3_3
.LBB3_2:                                ;   in Loop: Header=BB3_3 Depth=1
	s_wait_xcnt 0x0
	s_or_b32 exec_lo, exec_lo, s1
	s_add_nc_u64 s[6:7], s[6:7], 0x400
	v_add_nc_u64_e32 v[4:5], 0x2000, v[4:5]
	v_cmp_ge_i64_e64 s1, s[6:7], s[14:15]
	v_add_nc_u64_e32 v[6:7], 0x2000, v[6:7]
	s_wait_storecnt_dscnt 0x0
	s_barrier_signal -1
	s_barrier_wait -1
	s_and_b32 vcc_lo, exec_lo, s1
	s_cbranch_vccnz .LBB3_52
.LBB3_3:                                ; =>This Inner Loop Header: Depth=1
	v_add_nc_u64_e32 v[12:13], s[6:7], v[0:1]
	v_mov_b64_e32 v[8:9], 0
	v_mov_b64_e32 v[10:11], -1
	s_delay_alu instid0(VALU_DEP_3)
	v_cmp_gt_i64_e32 vcc_lo, s[14:15], v[12:13]
	v_mov_b64_e32 v[12:13], 0
	s_and_saveexec_b32 s1, vcc_lo
	s_cbranch_execz .LBB3_5
; %bb.4:                                ;   in Loop: Header=BB3_3 Depth=1
	global_load_b64 v[10:11], v[4:5], off
	global_load_b64 v[12:13], v[6:7], off
.LBB3_5:                                ;   in Loop: Header=BB3_3 Depth=1
	s_wait_xcnt 0x0
	s_or_b32 exec_lo, exec_lo, s1
	s_wait_loadcnt 0x1
	ds_store_b64 v2, v[10:11]
	s_wait_loadcnt 0x0
	ds_store_b64 v14, v[12:13]
	s_wait_dscnt 0x0
	s_barrier_signal -1
	s_barrier_wait -1
	s_and_saveexec_b32 s1, s19
	s_cbranch_execz .LBB3_9
; %bb.6:                                ;   in Loop: Header=BB3_3 Depth=1
	ds_load_2addr_b64 v[8:11], v15 offset1:1
	s_wait_dscnt 0x0
	v_cmp_eq_u64_e32 vcc_lo, v[10:11], v[8:9]
	v_mov_b64_e32 v[8:9], 0
	s_and_saveexec_b32 s8, vcc_lo
; %bb.7:                                ;   in Loop: Header=BB3_3 Depth=1
	ds_load_b64 v[8:9], v16
; %bb.8:                                ;   in Loop: Header=BB3_3 Depth=1
	s_or_b32 exec_lo, exec_lo, s8
.LBB3_9:                                ;   in Loop: Header=BB3_3 Depth=1
	s_delay_alu instid0(SALU_CYCLE_1)
	s_or_b32 exec_lo, exec_lo, s1
	s_wait_dscnt 0x0
	s_barrier_signal -1
	s_barrier_wait -1
	ds_load_b64 v[10:11], v14
	s_wait_dscnt 0x0
	v_add_f64_e32 v[12:13], v[8:9], v[10:11]
	v_mov_b64_e32 v[8:9], 0
	v_mov_b64_e32 v[10:11], 0
	ds_store_b64 v14, v[12:13]
	s_wait_dscnt 0x0
	s_barrier_signal -1
	s_barrier_wait -1
	s_and_saveexec_b32 s1, s20
	s_cbranch_execz .LBB3_13
; %bb.10:                               ;   in Loop: Header=BB3_3 Depth=1
	ds_load_b64 v[10:11], v2
	ds_load_b64 v[12:13], v17
	s_wait_dscnt 0x0
	v_cmp_eq_u64_e32 vcc_lo, v[10:11], v[12:13]
	v_mov_b64_e32 v[10:11], 0
	s_and_saveexec_b32 s8, vcc_lo
; %bb.11:                               ;   in Loop: Header=BB3_3 Depth=1
	ds_load_b64 v[10:11], v18
; %bb.12:                               ;   in Loop: Header=BB3_3 Depth=1
	s_or_b32 exec_lo, exec_lo, s8
.LBB3_13:                               ;   in Loop: Header=BB3_3 Depth=1
	s_delay_alu instid0(SALU_CYCLE_1)
	s_or_b32 exec_lo, exec_lo, s1
	s_wait_dscnt 0x0
	s_barrier_signal -1
	s_barrier_wait -1
	ds_load_b64 v[12:13], v14
	s_wait_dscnt 0x0
	v_add_f64_e32 v[10:11], v[10:11], v[12:13]
	ds_store_b64 v14, v[10:11]
	s_wait_dscnt 0x0
	s_barrier_signal -1
	s_barrier_wait -1
	s_and_saveexec_b32 s1, s21
	s_cbranch_execz .LBB3_17
; %bb.14:                               ;   in Loop: Header=BB3_3 Depth=1
	ds_load_b64 v[8:9], v2
	ds_load_b64 v[10:11], v19
	s_wait_dscnt 0x0
	v_cmp_eq_u64_e32 vcc_lo, v[8:9], v[10:11]
	v_mov_b64_e32 v[8:9], 0
	s_and_saveexec_b32 s8, vcc_lo
; %bb.15:                               ;   in Loop: Header=BB3_3 Depth=1
	ds_load_b64 v[8:9], v20
; %bb.16:                               ;   in Loop: Header=BB3_3 Depth=1
	s_or_b32 exec_lo, exec_lo, s8
.LBB3_17:                               ;   in Loop: Header=BB3_3 Depth=1
	s_delay_alu instid0(SALU_CYCLE_1)
	s_or_b32 exec_lo, exec_lo, s1
	s_wait_dscnt 0x0
	s_barrier_signal -1
	s_barrier_wait -1
	ds_load_b64 v[10:11], v14
	s_wait_dscnt 0x0
	v_add_f64_e32 v[12:13], v[8:9], v[10:11]
	v_mov_b64_e32 v[8:9], 0
	v_mov_b64_e32 v[10:11], 0
	ds_store_b64 v14, v[12:13]
	s_wait_dscnt 0x0
	s_barrier_signal -1
	s_barrier_wait -1
	s_and_saveexec_b32 s1, s22
	s_cbranch_execz .LBB3_21
; %bb.18:                               ;   in Loop: Header=BB3_3 Depth=1
	ds_load_b64 v[10:11], v2
	ds_load_b64 v[12:13], v21
	s_wait_dscnt 0x0
	v_cmp_eq_u64_e32 vcc_lo, v[10:11], v[12:13]
	v_mov_b64_e32 v[10:11], 0
	s_and_saveexec_b32 s8, vcc_lo
; %bb.19:                               ;   in Loop: Header=BB3_3 Depth=1
	ds_load_b64 v[10:11], v22
; %bb.20:                               ;   in Loop: Header=BB3_3 Depth=1
	s_or_b32 exec_lo, exec_lo, s8
.LBB3_21:                               ;   in Loop: Header=BB3_3 Depth=1
	s_delay_alu instid0(SALU_CYCLE_1)
	s_or_b32 exec_lo, exec_lo, s1
	s_wait_dscnt 0x0
	s_barrier_signal -1
	s_barrier_wait -1
	ds_load_b64 v[12:13], v14
	s_wait_dscnt 0x0
	v_add_f64_e32 v[10:11], v[10:11], v[12:13]
	ds_store_b64 v14, v[10:11]
	s_wait_dscnt 0x0
	s_barrier_signal -1
	s_barrier_wait -1
	s_and_saveexec_b32 s1, s23
	s_cbranch_execz .LBB3_25
; %bb.22:                               ;   in Loop: Header=BB3_3 Depth=1
	ds_load_b64 v[8:9], v2
	ds_load_b64 v[10:11], v23
	s_wait_dscnt 0x0
	v_cmp_eq_u64_e32 vcc_lo, v[8:9], v[10:11]
	v_mov_b64_e32 v[8:9], 0
	s_and_saveexec_b32 s8, vcc_lo
; %bb.23:                               ;   in Loop: Header=BB3_3 Depth=1
	ds_load_b64 v[8:9], v24
; %bb.24:                               ;   in Loop: Header=BB3_3 Depth=1
	s_or_b32 exec_lo, exec_lo, s8
.LBB3_25:                               ;   in Loop: Header=BB3_3 Depth=1
	;; [unrolled: 54-line block ×4, first 2 shown]
	s_delay_alu instid0(SALU_CYCLE_1)
	s_or_b32 exec_lo, exec_lo, s1
	s_wait_dscnt 0x0
	s_barrier_signal -1
	s_barrier_wait -1
	ds_load_b64 v[10:11], v14
	s_wait_dscnt 0x0
	v_add_f64_e32 v[10:11], v[8:9], v[10:11]
	v_mov_b64_e32 v[8:9], 0
	ds_store_b64 v14, v[10:11]
	s_wait_dscnt 0x0
	s_barrier_signal -1
	s_barrier_wait -1
	s_and_saveexec_b32 s1, s28
	s_cbranch_execz .LBB3_45
; %bb.42:                               ;   in Loop: Header=BB3_3 Depth=1
	ds_load_b64 v[8:9], v2
	ds_load_b64 v[10:11], v33
	s_wait_dscnt 0x0
	v_cmp_eq_u64_e32 vcc_lo, v[8:9], v[10:11]
	v_mov_b64_e32 v[8:9], 0
	s_and_saveexec_b32 s8, vcc_lo
; %bb.43:                               ;   in Loop: Header=BB3_3 Depth=1
	ds_load_b64 v[8:9], v34
; %bb.44:                               ;   in Loop: Header=BB3_3 Depth=1
	s_or_b32 exec_lo, exec_lo, s8
.LBB3_45:                               ;   in Loop: Header=BB3_3 Depth=1
	s_delay_alu instid0(SALU_CYCLE_1)
	s_or_b32 exec_lo, exec_lo, s1
	s_wait_dscnt 0x0
	s_barrier_signal -1
	s_barrier_wait -1
	ds_load_b64 v[10:11], v14
	s_wait_dscnt 0x0
	v_add_f64_e32 v[8:9], v[8:9], v[10:11]
	v_mov_b64_e32 v[10:11], -1
	ds_store_b64 v14, v[8:9]
	s_wait_dscnt 0x0
	s_barrier_signal -1
	s_barrier_wait -1
	ds_load_b64 v[8:9], v2
	s_and_saveexec_b32 s1, s0
; %bb.46:                               ;   in Loop: Header=BB3_3 Depth=1
	ds_load_b64 v[10:11], v2 offset:8
; %bb.47:                               ;   in Loop: Header=BB3_3 Depth=1
	s_or_b32 exec_lo, exec_lo, s1
	s_wait_dscnt 0x0
	v_cmp_ne_u64_e32 vcc_lo, v[8:9], v[10:11]
	v_cmp_lt_i64_e64 s1, -1, v[8:9]
	s_and_b32 s8, s1, vcc_lo
	s_delay_alu instid0(SALU_CYCLE_1)
	s_and_saveexec_b32 s1, s8
	s_cbranch_execz .LBB3_2
; %bb.48:                               ;   in Loop: Header=BB3_3 Depth=1
	ds_load_b64 v[10:11], v14
	s_and_b32 vcc_lo, exec_lo, s18
	s_mov_b32 s8, -1
	s_cbranch_vccz .LBB3_50
; %bb.49:                               ;   in Loop: Header=BB3_3 Depth=1
	v_mul_u64_e32 v[12:13], s[10:11], v[8:9]
	s_mov_b32 s8, 0
	s_delay_alu instid0(VALU_DEP_1)
	v_lshl_add_u64 v[12:13], v[12:13], 3, s[2:3]
	global_load_b64 v[36:37], v[12:13], off
	s_wait_loadcnt_dscnt 0x0
	v_add_f64_e32 v[36:37], v[10:11], v[36:37]
	global_store_b64 v[12:13], v[36:37], off
.LBB3_50:                               ;   in Loop: Header=BB3_3 Depth=1
	s_and_not1_b32 vcc_lo, exec_lo, s8
	s_cbranch_vccnz .LBB3_2
; %bb.51:                               ;   in Loop: Header=BB3_3 Depth=1
	v_lshl_add_u64 v[8:9], v[8:9], 3, s[4:5]
	global_load_b64 v[12:13], v[8:9], off
	s_wait_loadcnt_dscnt 0x0
	v_add_f64_e32 v[10:11], v[10:11], v[12:13]
	global_store_b64 v[8:9], v[10:11], off
	s_branch .LBB3_2
.LBB3_52:
	s_endpgm
	.section	.rodata,"a",@progbits
	.p2align	6, 0x0
	.amdhsa_kernel _ZN9rocsparseL28coommnn_general_block_reduceILj1024EdldEEvT1_S1_PKS1_PKT0_PT2_ll16rocsparse_order_
		.amdhsa_group_segment_fixed_size 16384
		.amdhsa_private_segment_fixed_size 0
		.amdhsa_kernarg_size 60
		.amdhsa_user_sgpr_count 2
		.amdhsa_user_sgpr_dispatch_ptr 0
		.amdhsa_user_sgpr_queue_ptr 0
		.amdhsa_user_sgpr_kernarg_segment_ptr 1
		.amdhsa_user_sgpr_dispatch_id 0
		.amdhsa_user_sgpr_kernarg_preload_length 0
		.amdhsa_user_sgpr_kernarg_preload_offset 0
		.amdhsa_user_sgpr_private_segment_size 0
		.amdhsa_wavefront_size32 1
		.amdhsa_uses_dynamic_stack 0
		.amdhsa_enable_private_segment 0
		.amdhsa_system_sgpr_workgroup_id_x 1
		.amdhsa_system_sgpr_workgroup_id_y 0
		.amdhsa_system_sgpr_workgroup_id_z 1
		.amdhsa_system_sgpr_workgroup_info 0
		.amdhsa_system_vgpr_workitem_id 0
		.amdhsa_next_free_vgpr 38
		.amdhsa_next_free_sgpr 38
		.amdhsa_named_barrier_count 0
		.amdhsa_reserve_vcc 1
		.amdhsa_float_round_mode_32 0
		.amdhsa_float_round_mode_16_64 0
		.amdhsa_float_denorm_mode_32 3
		.amdhsa_float_denorm_mode_16_64 3
		.amdhsa_fp16_overflow 0
		.amdhsa_memory_ordered 1
		.amdhsa_forward_progress 1
		.amdhsa_inst_pref_size 17
		.amdhsa_round_robin_scheduling 0
		.amdhsa_exception_fp_ieee_invalid_op 0
		.amdhsa_exception_fp_denorm_src 0
		.amdhsa_exception_fp_ieee_div_zero 0
		.amdhsa_exception_fp_ieee_overflow 0
		.amdhsa_exception_fp_ieee_underflow 0
		.amdhsa_exception_fp_ieee_inexact 0
		.amdhsa_exception_int_div_zero 0
	.end_amdhsa_kernel
	.section	.text._ZN9rocsparseL28coommnn_general_block_reduceILj1024EdldEEvT1_S1_PKS1_PKT0_PT2_ll16rocsparse_order_,"axG",@progbits,_ZN9rocsparseL28coommnn_general_block_reduceILj1024EdldEEvT1_S1_PKS1_PKT0_PT2_ll16rocsparse_order_,comdat
.Lfunc_end3:
	.size	_ZN9rocsparseL28coommnn_general_block_reduceILj1024EdldEEvT1_S1_PKS1_PKT0_PT2_ll16rocsparse_order_, .Lfunc_end3-_ZN9rocsparseL28coommnn_general_block_reduceILj1024EdldEEvT1_S1_PKS1_PKT0_PT2_ll16rocsparse_order_
                                        ; -- End function
	.set _ZN9rocsparseL28coommnn_general_block_reduceILj1024EdldEEvT1_S1_PKS1_PKT0_PT2_ll16rocsparse_order_.num_vgpr, 38
	.set _ZN9rocsparseL28coommnn_general_block_reduceILj1024EdldEEvT1_S1_PKS1_PKT0_PT2_ll16rocsparse_order_.num_agpr, 0
	.set _ZN9rocsparseL28coommnn_general_block_reduceILj1024EdldEEvT1_S1_PKS1_PKT0_PT2_ll16rocsparse_order_.numbered_sgpr, 38
	.set _ZN9rocsparseL28coommnn_general_block_reduceILj1024EdldEEvT1_S1_PKS1_PKT0_PT2_ll16rocsparse_order_.num_named_barrier, 0
	.set _ZN9rocsparseL28coommnn_general_block_reduceILj1024EdldEEvT1_S1_PKS1_PKT0_PT2_ll16rocsparse_order_.private_seg_size, 0
	.set _ZN9rocsparseL28coommnn_general_block_reduceILj1024EdldEEvT1_S1_PKS1_PKT0_PT2_ll16rocsparse_order_.uses_vcc, 1
	.set _ZN9rocsparseL28coommnn_general_block_reduceILj1024EdldEEvT1_S1_PKS1_PKT0_PT2_ll16rocsparse_order_.uses_flat_scratch, 0
	.set _ZN9rocsparseL28coommnn_general_block_reduceILj1024EdldEEvT1_S1_PKS1_PKT0_PT2_ll16rocsparse_order_.has_dyn_sized_stack, 0
	.set _ZN9rocsparseL28coommnn_general_block_reduceILj1024EdldEEvT1_S1_PKS1_PKT0_PT2_ll16rocsparse_order_.has_recursion, 0
	.set _ZN9rocsparseL28coommnn_general_block_reduceILj1024EdldEEvT1_S1_PKS1_PKT0_PT2_ll16rocsparse_order_.has_indirect_call, 0
	.section	.AMDGPU.csdata,"",@progbits
; Kernel info:
; codeLenInByte = 2052
; TotalNumSgprs: 40
; NumVgprs: 38
; ScratchSize: 0
; MemoryBound: 0
; FloatMode: 240
; IeeeMode: 1
; LDSByteSize: 16384 bytes/workgroup (compile time only)
; SGPRBlocks: 0
; VGPRBlocks: 2
; NumSGPRsForWavesPerEU: 40
; NumVGPRsForWavesPerEU: 38
; NamedBarCnt: 0
; Occupancy: 16
; WaveLimiterHint : 0
; COMPUTE_PGM_RSRC2:SCRATCH_EN: 0
; COMPUTE_PGM_RSRC2:USER_SGPR: 2
; COMPUTE_PGM_RSRC2:TRAP_HANDLER: 0
; COMPUTE_PGM_RSRC2:TGID_X_EN: 1
; COMPUTE_PGM_RSRC2:TGID_Y_EN: 0
; COMPUTE_PGM_RSRC2:TGID_Z_EN: 1
; COMPUTE_PGM_RSRC2:TIDIG_COMP_CNT: 0
	.section	.text._ZN9rocsparseL28coommnn_general_block_reduceILj1024E21rocsparse_complex_numIfEiS2_EEvT1_S3_PKS3_PKT0_PT2_ll16rocsparse_order_,"axG",@progbits,_ZN9rocsparseL28coommnn_general_block_reduceILj1024E21rocsparse_complex_numIfEiS2_EEvT1_S3_PKS3_PKT0_PT2_ll16rocsparse_order_,comdat
	.globl	_ZN9rocsparseL28coommnn_general_block_reduceILj1024E21rocsparse_complex_numIfEiS2_EEvT1_S3_PKS3_PKT0_PT2_ll16rocsparse_order_ ; -- Begin function _ZN9rocsparseL28coommnn_general_block_reduceILj1024E21rocsparse_complex_numIfEiS2_EEvT1_S3_PKS3_PKT0_PT2_ll16rocsparse_order_
	.p2align	8
	.type	_ZN9rocsparseL28coommnn_general_block_reduceILj1024E21rocsparse_complex_numIfEiS2_EEvT1_S3_PKS3_PKT0_PT2_ll16rocsparse_order_,@function
_ZN9rocsparseL28coommnn_general_block_reduceILj1024E21rocsparse_complex_numIfEiS2_EEvT1_S3_PKS3_PKT0_PT2_ll16rocsparse_order_: ; @_ZN9rocsparseL28coommnn_general_block_reduceILj1024E21rocsparse_complex_numIfEiS2_EEvT1_S3_PKS3_PKT0_PT2_ll16rocsparse_order_
; %bb.0:
	s_load_b64 s[2:3], s[0:1], 0x0
	s_wait_kmcnt 0x0
	s_cmp_lt_i32 s3, 1
	s_cbranch_scc1 .LBB4_52
; %bb.1:
	s_bfe_u32 s12, ttmp6, 0x4000c
	s_bfe_u32 s14, ttmp6, 0x40014
	s_add_co_i32 s12, s12, 1
	s_and_b32 s13, ttmp6, 15
	s_mul_i32 s12, ttmp9, s12
	s_lshr_b32 s15, ttmp7, 16
	s_add_co_i32 s14, s14, 1
	s_add_co_i32 s17, s13, s12
	s_mul_i32 s12, s15, s14
	s_bfe_u32 s13, ttmp6, 0x40008
	s_getreg_b32 s14, hwreg(HW_REG_IB_STS2, 6, 4)
	s_add_co_i32 s16, s13, s12
	s_cmp_eq_u32 s14, 0
	s_load_b256 s[4:11], s[0:1], 0x8
	s_cselect_b32 s16, s15, s16
	s_load_b96 s[12:14], s[0:1], 0x28
	s_wait_xcnt 0x0
	s_mul_i32 s0, s2, s16
	s_cselect_b32 s26, ttmp9, s17
	v_sub_co_u32 v3, s15, v0, 2
	s_add_co_i32 s1, s0, s26
	v_sub_co_u32 v2, s0, v0, 1
	s_xor_b32 s2, s0, -1
	v_lshl_add_u32 v11, v3, 2, 0x2000
	v_sub_co_u32 v3, s19, v0, 8
	v_lshl_add_u32 v9, v2, 2, 0x2000
	v_sub_co_u32 v2, s0, v0, 4
	s_xor_b32 s18, s0, -1
	v_lshl_add_u32 v15, v3, 2, 0x2000
	v_sub_co_u32 v3, s21, v0, 32
	v_lshl_add_u32 v13, v2, 2, 0x2000
	v_sub_co_u32 v2, s0, v0, 16
	s_xor_b32 s20, s0, -1
	v_lshl_add_u32 v19, v3, 2, 0x2000
	v_subrev_co_u32 v3, s23, 0x80, v0
	v_lshl_add_u32 v17, v2, 2, 0x2000
	v_sub_co_u32 v2, s0, v0, 64
	s_xor_b32 s22, s0, -1
	v_lshl_add_u32 v23, v3, 2, 0x2000
	v_subrev_co_u32 v3, s25, 0x200, v0
	v_lshl_add_u32 v21, v2, 2, 0x2000
	v_subrev_co_u32 v2, s0, 0x100, v0
	s_xor_b32 s15, s15, -1
	s_xor_b32 s19, s19, -1
	;; [unrolled: 1-line block ×6, first 2 shown]
	s_wait_kmcnt 0x0
	s_cmp_lg_u32 s14, 1
	v_mad_u32 v29, s3, s16, v0
	v_mad_u32 v30, s1, s3, v0
	v_lshlrev_b32_e32 v8, 3, v0
	s_cselect_b32 s14, -1, 0
	s_ashr_i32 s27, s26, 31
	s_mov_b32 s17, 0
	s_lshl_b64 s[28:29], s[26:27], 3
	s_mul_u64 s[26:27], s[10:11], s[26:27]
	s_mul_u64 s[12:13], s[12:13], s[16:17]
	s_lshl_b64 s[26:27], s[26:27], 3
	v_lshl_or_b32 v1, v0, 2, 0x2000
	v_lshl_add_u32 v25, v2, 2, 0x2000
	v_lshl_add_u32 v27, v3, 2, 0x2000
	v_cmp_ne_u32_e64 s0, 0x3ff, v0
	v_dual_mov_b32 v3, 0 :: v_dual_add_nc_u32 v10, -8, v8
	v_add_nc_u32_e32 v12, -16, v8
	v_subrev_nc_u32_e32 v14, 32, v8
	v_subrev_nc_u32_e32 v16, 64, v8
	v_add_nc_u32_e32 v18, 0xffffff80, v8
	v_add_nc_u32_e32 v20, 0xffffff00, v8
	;; [unrolled: 1-line block ×6, first 2 shown]
	s_add_nc_u64 s[28:29], s[8:9], s[28:29]
	s_lshl_b64 s[12:13], s[12:13], 3
	s_add_nc_u64 s[26:27], s[8:9], s[26:27]
	s_add_nc_u64 s[8:9], s[28:29], s[12:13]
	;; [unrolled: 1-line block ×3, first 2 shown]
	s_branch .LBB4_3
.LBB4_2:                                ;   in Loop: Header=BB4_3 Depth=1
	s_wait_xcnt 0x0
	s_or_b32 exec_lo, exec_lo, s1
	s_addk_co_i32 s17, 0x400
	s_wait_storecnt 0x0
	s_cmp_ge_i32 s17, s3
	s_barrier_signal -1
	s_barrier_wait -1
	s_cbranch_scc1 .LBB4_52
.LBB4_3:                                ; =>This Inner Loop Header: Depth=1
	v_dual_mov_b32 v2, -1 :: v_dual_add_nc_u32 v5, s17, v0
	v_mov_b32_e32 v4, 0
	s_delay_alu instid0(VALU_DEP_2)
	v_cmp_gt_i32_e32 vcc_lo, s3, v5
	v_mov_b32_e32 v5, 0
	s_and_saveexec_b32 s1, vcc_lo
	s_cbranch_execz .LBB4_5
; %bb.4:                                ;   in Loop: Header=BB4_3 Depth=1
	v_dual_add_nc_u32 v6, s17, v29 :: v_dual_add_nc_u32 v7, s17, v30
	global_load_b32 v2, v6, s[4:5] scale_offset
	global_load_b64 v[4:5], v7, s[6:7] scale_offset
.LBB4_5:                                ;   in Loop: Header=BB4_3 Depth=1
	s_wait_xcnt 0x0
	s_or_b32 exec_lo, exec_lo, s1
	s_wait_loadcnt 0x1
	ds_store_b32 v1, v2
	s_wait_loadcnt 0x0
	ds_store_b64 v8, v[4:5]
	v_dual_mov_b32 v4, 0 :: v_dual_mov_b32 v6, 0
	v_mov_b32_e32 v7, 0
	s_wait_dscnt 0x0
	s_barrier_signal -1
	s_barrier_wait -1
	s_and_saveexec_b32 s1, s2
	s_cbranch_execz .LBB4_9
; %bb.6:                                ;   in Loop: Header=BB4_3 Depth=1
	ds_load_2addr_b32 v[32:33], v9 offset1:1
	v_dual_mov_b32 v7, 0 :: v_dual_mov_b32 v6, 0
	s_mov_b32 s16, exec_lo
	s_wait_dscnt 0x0
	v_cmpx_eq_u32_e64 v33, v32
; %bb.7:                                ;   in Loop: Header=BB4_3 Depth=1
	ds_load_b64 v[6:7], v10
; %bb.8:                                ;   in Loop: Header=BB4_3 Depth=1
	s_or_b32 exec_lo, exec_lo, s16
.LBB4_9:                                ;   in Loop: Header=BB4_3 Depth=1
	s_delay_alu instid0(SALU_CYCLE_1)
	s_or_b32 exec_lo, exec_lo, s1
	s_wait_dscnt 0x0
	s_barrier_signal -1
	s_barrier_wait -1
	ds_load_b64 v[32:33], v8
	v_mov_b32_e32 v5, 0
	s_wait_dscnt 0x0
	v_pk_add_f32 v[6:7], v[6:7], v[32:33]
	ds_store_b64 v8, v[6:7]
	s_wait_dscnt 0x0
	s_barrier_signal -1
	s_barrier_wait -1
	s_and_saveexec_b32 s1, s15
	s_cbranch_execz .LBB4_13
; %bb.10:                               ;   in Loop: Header=BB4_3 Depth=1
	ds_load_b32 v2, v1
	ds_load_b32 v4, v11
	v_mov_b32_e32 v5, 0
	s_wait_dscnt 0x0
	v_cmp_eq_u32_e32 vcc_lo, v2, v4
	v_mov_b32_e32 v4, 0
	s_and_saveexec_b32 s16, vcc_lo
; %bb.11:                               ;   in Loop: Header=BB4_3 Depth=1
	ds_load_b64 v[4:5], v12
; %bb.12:                               ;   in Loop: Header=BB4_3 Depth=1
	s_or_b32 exec_lo, exec_lo, s16
.LBB4_13:                               ;   in Loop: Header=BB4_3 Depth=1
	s_delay_alu instid0(SALU_CYCLE_1)
	s_or_b32 exec_lo, exec_lo, s1
	s_wait_dscnt 0x0
	s_barrier_signal -1
	s_barrier_wait -1
	ds_load_b64 v[6:7], v8
	s_wait_dscnt 0x0
	v_pk_add_f32 v[32:33], v[4:5], v[6:7]
	v_dual_mov_b32 v4, 0 :: v_dual_mov_b32 v6, 0
	v_mov_b32_e32 v7, 0
	ds_store_b64 v8, v[32:33]
	s_wait_dscnt 0x0
	s_barrier_signal -1
	s_barrier_wait -1
	s_and_saveexec_b32 s1, s18
	s_cbranch_execz .LBB4_17
; %bb.14:                               ;   in Loop: Header=BB4_3 Depth=1
	ds_load_b32 v2, v1
	ds_load_b32 v5, v13
	v_dual_mov_b32 v7, 0 :: v_dual_mov_b32 v6, 0
	s_mov_b32 s16, exec_lo
	s_wait_dscnt 0x0
	v_cmpx_eq_u32_e64 v2, v5
; %bb.15:                               ;   in Loop: Header=BB4_3 Depth=1
	ds_load_b64 v[6:7], v14
; %bb.16:                               ;   in Loop: Header=BB4_3 Depth=1
	s_or_b32 exec_lo, exec_lo, s16
.LBB4_17:                               ;   in Loop: Header=BB4_3 Depth=1
	s_delay_alu instid0(SALU_CYCLE_1)
	s_or_b32 exec_lo, exec_lo, s1
	s_wait_dscnt 0x0
	s_barrier_signal -1
	s_barrier_wait -1
	ds_load_b64 v[32:33], v8
	v_mov_b32_e32 v5, 0
	s_wait_dscnt 0x0
	v_pk_add_f32 v[6:7], v[6:7], v[32:33]
	ds_store_b64 v8, v[6:7]
	s_wait_dscnt 0x0
	s_barrier_signal -1
	s_barrier_wait -1
	s_and_saveexec_b32 s1, s19
	s_cbranch_execz .LBB4_21
; %bb.18:                               ;   in Loop: Header=BB4_3 Depth=1
	ds_load_b32 v2, v1
	ds_load_b32 v4, v15
	v_mov_b32_e32 v5, 0
	s_wait_dscnt 0x0
	v_cmp_eq_u32_e32 vcc_lo, v2, v4
	v_mov_b32_e32 v4, 0
	s_and_saveexec_b32 s16, vcc_lo
; %bb.19:                               ;   in Loop: Header=BB4_3 Depth=1
	ds_load_b64 v[4:5], v16
; %bb.20:                               ;   in Loop: Header=BB4_3 Depth=1
	s_or_b32 exec_lo, exec_lo, s16
.LBB4_21:                               ;   in Loop: Header=BB4_3 Depth=1
	s_delay_alu instid0(SALU_CYCLE_1)
	s_or_b32 exec_lo, exec_lo, s1
	s_wait_dscnt 0x0
	s_barrier_signal -1
	s_barrier_wait -1
	ds_load_b64 v[6:7], v8
	s_wait_dscnt 0x0
	v_pk_add_f32 v[32:33], v[4:5], v[6:7]
	v_dual_mov_b32 v4, 0 :: v_dual_mov_b32 v6, 0
	v_mov_b32_e32 v7, 0
	ds_store_b64 v8, v[32:33]
	s_wait_dscnt 0x0
	s_barrier_signal -1
	s_barrier_wait -1
	s_and_saveexec_b32 s1, s20
	s_cbranch_execz .LBB4_25
; %bb.22:                               ;   in Loop: Header=BB4_3 Depth=1
	ds_load_b32 v2, v1
	ds_load_b32 v5, v17
	v_dual_mov_b32 v7, 0 :: v_dual_mov_b32 v6, 0
	s_mov_b32 s16, exec_lo
	s_wait_dscnt 0x0
	v_cmpx_eq_u32_e64 v2, v5
; %bb.23:                               ;   in Loop: Header=BB4_3 Depth=1
	ds_load_b64 v[6:7], v18
; %bb.24:                               ;   in Loop: Header=BB4_3 Depth=1
	s_or_b32 exec_lo, exec_lo, s16
.LBB4_25:                               ;   in Loop: Header=BB4_3 Depth=1
	;; [unrolled: 56-line block ×4, first 2 shown]
	s_delay_alu instid0(SALU_CYCLE_1)
	s_or_b32 exec_lo, exec_lo, s1
	s_wait_dscnt 0x0
	s_barrier_signal -1
	s_barrier_wait -1
	ds_load_b64 v[32:33], v8
	v_mov_b32_e32 v5, 0
	s_wait_dscnt 0x0
	v_pk_add_f32 v[6:7], v[6:7], v[32:33]
	ds_store_b64 v8, v[6:7]
	s_wait_dscnt 0x0
	s_barrier_signal -1
	s_barrier_wait -1
	s_and_saveexec_b32 s1, s25
	s_cbranch_execz .LBB4_45
; %bb.42:                               ;   in Loop: Header=BB4_3 Depth=1
	ds_load_b32 v2, v1
	ds_load_b32 v4, v27
	v_mov_b32_e32 v5, 0
	s_wait_dscnt 0x0
	v_cmp_eq_u32_e32 vcc_lo, v2, v4
	v_mov_b32_e32 v4, 0
	s_and_saveexec_b32 s16, vcc_lo
; %bb.43:                               ;   in Loop: Header=BB4_3 Depth=1
	ds_load_b64 v[4:5], v28
; %bb.44:                               ;   in Loop: Header=BB4_3 Depth=1
	s_or_b32 exec_lo, exec_lo, s16
.LBB4_45:                               ;   in Loop: Header=BB4_3 Depth=1
	s_delay_alu instid0(SALU_CYCLE_1)
	s_or_b32 exec_lo, exec_lo, s1
	s_wait_dscnt 0x0
	s_barrier_signal -1
	s_barrier_wait -1
	ds_load_b64 v[6:7], v8
	s_wait_dscnt 0x0
	v_pk_add_f32 v[4:5], v[4:5], v[6:7]
	ds_store_b64 v8, v[4:5]
	s_wait_dscnt 0x0
	s_barrier_signal -1
	s_barrier_wait -1
	ds_load_b32 v2, v1
	v_mov_b32_e32 v4, -1
	s_and_saveexec_b32 s1, s0
; %bb.46:                               ;   in Loop: Header=BB4_3 Depth=1
	ds_load_b32 v4, v1 offset:4
; %bb.47:                               ;   in Loop: Header=BB4_3 Depth=1
	s_or_b32 exec_lo, exec_lo, s1
	s_wait_dscnt 0x0
	v_cmp_ne_u32_e32 vcc_lo, v2, v4
	v_cmp_lt_i32_e64 s1, -1, v2
	s_and_b32 s16, s1, vcc_lo
	s_delay_alu instid0(SALU_CYCLE_1)
	s_and_saveexec_b32 s1, s16
	s_cbranch_execz .LBB4_2
; %bb.48:                               ;   in Loop: Header=BB4_3 Depth=1
	s_and_b32 vcc_lo, exec_lo, s14
	s_mov_b32 s16, -1
	s_cbranch_vccz .LBB4_50
; %bb.49:                               ;   in Loop: Header=BB4_3 Depth=1
	v_mul_u64_e32 v[4:5], s[10:11], v[2:3]
	ds_load_b64 v[32:33], v8
	s_mov_b32 s16, 0
	v_lshl_add_u64 v[4:5], v[4:5], 3, s[8:9]
	global_load_b64 v[6:7], v[4:5], off
	s_wait_loadcnt_dscnt 0x0
	v_pk_add_f32 v[6:7], v[32:33], v[6:7]
	global_store_b64 v[4:5], v[6:7], off
.LBB4_50:                               ;   in Loop: Header=BB4_3 Depth=1
	s_and_not1_b32 vcc_lo, exec_lo, s16
	s_cbranch_vccnz .LBB4_2
; %bb.51:                               ;   in Loop: Header=BB4_3 Depth=1
	s_wait_xcnt 0x0
	v_lshl_add_u64 v[4:5], v[2:3], 3, s[12:13]
	ds_load_b64 v[32:33], v8
	global_load_b64 v[6:7], v[4:5], off
	s_wait_loadcnt_dscnt 0x0
	v_pk_add_f32 v[6:7], v[32:33], v[6:7]
	global_store_b64 v[4:5], v[6:7], off
	s_branch .LBB4_2
.LBB4_52:
	s_endpgm
	.section	.rodata,"a",@progbits
	.p2align	6, 0x0
	.amdhsa_kernel _ZN9rocsparseL28coommnn_general_block_reduceILj1024E21rocsparse_complex_numIfEiS2_EEvT1_S3_PKS3_PKT0_PT2_ll16rocsparse_order_
		.amdhsa_group_segment_fixed_size 12288
		.amdhsa_private_segment_fixed_size 0
		.amdhsa_kernarg_size 52
		.amdhsa_user_sgpr_count 2
		.amdhsa_user_sgpr_dispatch_ptr 0
		.amdhsa_user_sgpr_queue_ptr 0
		.amdhsa_user_sgpr_kernarg_segment_ptr 1
		.amdhsa_user_sgpr_dispatch_id 0
		.amdhsa_user_sgpr_kernarg_preload_length 0
		.amdhsa_user_sgpr_kernarg_preload_offset 0
		.amdhsa_user_sgpr_private_segment_size 0
		.amdhsa_wavefront_size32 1
		.amdhsa_uses_dynamic_stack 0
		.amdhsa_enable_private_segment 0
		.amdhsa_system_sgpr_workgroup_id_x 1
		.amdhsa_system_sgpr_workgroup_id_y 0
		.amdhsa_system_sgpr_workgroup_id_z 1
		.amdhsa_system_sgpr_workgroup_info 0
		.amdhsa_system_vgpr_workitem_id 0
		.amdhsa_next_free_vgpr 34
		.amdhsa_next_free_sgpr 30
		.amdhsa_named_barrier_count 0
		.amdhsa_reserve_vcc 1
		.amdhsa_float_round_mode_32 0
		.amdhsa_float_round_mode_16_64 0
		.amdhsa_float_denorm_mode_32 3
		.amdhsa_float_denorm_mode_16_64 3
		.amdhsa_fp16_overflow 0
		.amdhsa_memory_ordered 1
		.amdhsa_forward_progress 1
		.amdhsa_inst_pref_size 17
		.amdhsa_round_robin_scheduling 0
		.amdhsa_exception_fp_ieee_invalid_op 0
		.amdhsa_exception_fp_denorm_src 0
		.amdhsa_exception_fp_ieee_div_zero 0
		.amdhsa_exception_fp_ieee_overflow 0
		.amdhsa_exception_fp_ieee_underflow 0
		.amdhsa_exception_fp_ieee_inexact 0
		.amdhsa_exception_int_div_zero 0
	.end_amdhsa_kernel
	.section	.text._ZN9rocsparseL28coommnn_general_block_reduceILj1024E21rocsparse_complex_numIfEiS2_EEvT1_S3_PKS3_PKT0_PT2_ll16rocsparse_order_,"axG",@progbits,_ZN9rocsparseL28coommnn_general_block_reduceILj1024E21rocsparse_complex_numIfEiS2_EEvT1_S3_PKS3_PKT0_PT2_ll16rocsparse_order_,comdat
.Lfunc_end4:
	.size	_ZN9rocsparseL28coommnn_general_block_reduceILj1024E21rocsparse_complex_numIfEiS2_EEvT1_S3_PKS3_PKT0_PT2_ll16rocsparse_order_, .Lfunc_end4-_ZN9rocsparseL28coommnn_general_block_reduceILj1024E21rocsparse_complex_numIfEiS2_EEvT1_S3_PKS3_PKT0_PT2_ll16rocsparse_order_
                                        ; -- End function
	.set _ZN9rocsparseL28coommnn_general_block_reduceILj1024E21rocsparse_complex_numIfEiS2_EEvT1_S3_PKS3_PKT0_PT2_ll16rocsparse_order_.num_vgpr, 34
	.set _ZN9rocsparseL28coommnn_general_block_reduceILj1024E21rocsparse_complex_numIfEiS2_EEvT1_S3_PKS3_PKT0_PT2_ll16rocsparse_order_.num_agpr, 0
	.set _ZN9rocsparseL28coommnn_general_block_reduceILj1024E21rocsparse_complex_numIfEiS2_EEvT1_S3_PKS3_PKT0_PT2_ll16rocsparse_order_.numbered_sgpr, 30
	.set _ZN9rocsparseL28coommnn_general_block_reduceILj1024E21rocsparse_complex_numIfEiS2_EEvT1_S3_PKS3_PKT0_PT2_ll16rocsparse_order_.num_named_barrier, 0
	.set _ZN9rocsparseL28coommnn_general_block_reduceILj1024E21rocsparse_complex_numIfEiS2_EEvT1_S3_PKS3_PKT0_PT2_ll16rocsparse_order_.private_seg_size, 0
	.set _ZN9rocsparseL28coommnn_general_block_reduceILj1024E21rocsparse_complex_numIfEiS2_EEvT1_S3_PKS3_PKT0_PT2_ll16rocsparse_order_.uses_vcc, 1
	.set _ZN9rocsparseL28coommnn_general_block_reduceILj1024E21rocsparse_complex_numIfEiS2_EEvT1_S3_PKS3_PKT0_PT2_ll16rocsparse_order_.uses_flat_scratch, 0
	.set _ZN9rocsparseL28coommnn_general_block_reduceILj1024E21rocsparse_complex_numIfEiS2_EEvT1_S3_PKS3_PKT0_PT2_ll16rocsparse_order_.has_dyn_sized_stack, 0
	.set _ZN9rocsparseL28coommnn_general_block_reduceILj1024E21rocsparse_complex_numIfEiS2_EEvT1_S3_PKS3_PKT0_PT2_ll16rocsparse_order_.has_recursion, 0
	.set _ZN9rocsparseL28coommnn_general_block_reduceILj1024E21rocsparse_complex_numIfEiS2_EEvT1_S3_PKS3_PKT0_PT2_ll16rocsparse_order_.has_indirect_call, 0
	.section	.AMDGPU.csdata,"",@progbits
; Kernel info:
; codeLenInByte = 2164
; TotalNumSgprs: 32
; NumVgprs: 34
; ScratchSize: 0
; MemoryBound: 0
; FloatMode: 240
; IeeeMode: 1
; LDSByteSize: 12288 bytes/workgroup (compile time only)
; SGPRBlocks: 0
; VGPRBlocks: 2
; NumSGPRsForWavesPerEU: 32
; NumVGPRsForWavesPerEU: 34
; NamedBarCnt: 0
; Occupancy: 16
; WaveLimiterHint : 0
; COMPUTE_PGM_RSRC2:SCRATCH_EN: 0
; COMPUTE_PGM_RSRC2:USER_SGPR: 2
; COMPUTE_PGM_RSRC2:TRAP_HANDLER: 0
; COMPUTE_PGM_RSRC2:TGID_X_EN: 1
; COMPUTE_PGM_RSRC2:TGID_Y_EN: 0
; COMPUTE_PGM_RSRC2:TGID_Z_EN: 1
; COMPUTE_PGM_RSRC2:TIDIG_COMP_CNT: 0
	.section	.text._ZN9rocsparseL28coommnn_general_block_reduceILj1024E21rocsparse_complex_numIfElS2_EEvT1_S3_PKS3_PKT0_PT2_ll16rocsparse_order_,"axG",@progbits,_ZN9rocsparseL28coommnn_general_block_reduceILj1024E21rocsparse_complex_numIfElS2_EEvT1_S3_PKS3_PKT0_PT2_ll16rocsparse_order_,comdat
	.globl	_ZN9rocsparseL28coommnn_general_block_reduceILj1024E21rocsparse_complex_numIfElS2_EEvT1_S3_PKS3_PKT0_PT2_ll16rocsparse_order_ ; -- Begin function _ZN9rocsparseL28coommnn_general_block_reduceILj1024E21rocsparse_complex_numIfElS2_EEvT1_S3_PKS3_PKT0_PT2_ll16rocsparse_order_
	.p2align	8
	.type	_ZN9rocsparseL28coommnn_general_block_reduceILj1024E21rocsparse_complex_numIfElS2_EEvT1_S3_PKS3_PKT0_PT2_ll16rocsparse_order_,@function
_ZN9rocsparseL28coommnn_general_block_reduceILj1024E21rocsparse_complex_numIfElS2_EEvT1_S3_PKS3_PKT0_PT2_ll16rocsparse_order_: ; @_ZN9rocsparseL28coommnn_general_block_reduceILj1024E21rocsparse_complex_numIfElS2_EEvT1_S3_PKS3_PKT0_PT2_ll16rocsparse_order_
; %bb.0:
	s_load_b128 s[12:15], s[0:1], 0x0
	s_wait_kmcnt 0x0
	v_cmp_lt_i64_e64 s2, s[14:15], 1
	s_and_b32 vcc_lo, exec_lo, s2
	s_cbranch_vccnz .LBB5_52
; %bb.1:
	s_bfe_u32 s2, ttmp6, 0x40014
	s_lshr_b32 s19, ttmp7, 16
	s_add_co_i32 s2, s2, 1
	s_clause 0x1
	s_load_b256 s[4:11], s[0:1], 0x10
	s_load_b96 s[16:18], s[0:1], 0x30
	s_wait_xcnt 0x0
	s_mul_i32 s0, s19, s2
	s_bfe_u32 s2, ttmp6, 0x4000c
	s_bfe_u32 s1, ttmp6, 0x40008
	s_add_co_i32 s2, s2, 1
	s_add_co_i32 s1, s1, s0
	s_and_b32 s0, ttmp6, 15
	s_mul_i32 s2, ttmp9, s2
	s_getreg_b32 s3, hwreg(HW_REG_IB_STS2, 6, 4)
	s_add_co_i32 s0, s0, s2
	s_cmp_eq_u32 s3, 0
	s_mov_b32 s3, 0
	s_cselect_b32 s2, ttmp9, s0
	v_sub_co_u32 v3, s0, v0, 1
	s_cselect_b32 s30, s19, s1
	s_xor_b32 s19, s0, -1
	v_sub_co_u32 v4, s0, v0, 2
	v_lshl_add_u32 v14, v3, 3, 0x2000
	s_xor_b32 s20, s0, -1
	v_sub_co_u32 v3, s0, v0, 4
	s_delay_alu instid0(VALU_DEP_3) | instskip(SKIP_2) | instid1(VALU_DEP_3)
	v_lshl_add_u32 v16, v4, 3, 0x2000
	s_xor_b32 s21, s0, -1
	v_sub_co_u32 v4, s0, v0, 8
	v_lshl_add_u32 v18, v3, 3, 0x2000
	s_xor_b32 s22, s0, -1
	v_sub_co_u32 v3, s0, v0, 16
	s_delay_alu instid0(VALU_DEP_3) | instskip(SKIP_2) | instid1(VALU_DEP_3)
	v_lshl_add_u32 v20, v4, 3, 0x2000
	;; [unrolled: 7-line block ×3, first 2 shown]
	s_xor_b32 s25, s0, -1
	v_subrev_co_u32 v4, s0, 0x80, v0
	v_lshl_add_u32 v26, v3, 3, 0x2000
	s_xor_b32 s26, s0, -1
	v_subrev_co_u32 v3, s0, 0x100, v0
	s_delay_alu instid0(VALU_DEP_3)
	v_lshl_add_u32 v28, v4, 3, 0x2000
	s_xor_b32 s27, s0, -1
	v_subrev_co_u32 v4, s0, 0x200, v0
	s_mov_b32 s31, s3
	s_lshl_b64 s[34:35], s[2:3], 3
	s_xor_b32 s28, s0, -1
	v_dual_mov_b32 v1, 0 :: v_dual_lshlrev_b32 v2, 3, v0
	s_wait_kmcnt 0x0
	s_cmp_lg_u32 s18, 1
	s_mul_u64 s[12:13], s[12:13], s[30:31]
	s_cselect_b32 s18, -1, 0
	s_lshl_b64 s[12:13], s[12:13], 3
	s_mul_u64 s[16:17], s[16:17], s[30:31]
	s_mul_u64 s[30:31], s[14:15], s[30:31]
	s_add_nc_u64 s[12:13], s[12:13], s[34:35]
	v_lshl_add_u32 v30, v3, 3, 0x2000
	v_mov_b32_e32 v3, v1
	s_lshl_b64 s[30:31], s[30:31], 3
	s_mul_u64 s[12:13], s[14:15], s[12:13]
	s_add_nc_u64 s[4:5], s[4:5], s[30:31]
	s_add_nc_u64 s[6:7], s[6:7], s[12:13]
	s_mul_u64 s[2:3], s[10:11], s[2:3]
	v_lshl_add_u32 v32, v4, 3, 0x2000
	v_add_nc_u64_e32 v[4:5], s[4:5], v[2:3]
	v_add_nc_u64_e32 v[6:7], s[6:7], v[2:3]
	s_lshl_b64 s[2:3], s[2:3], 3
	v_or_b32_e32 v12, 0x2000, v2
	v_dual_add_nc_u32 v13, -8, v2 :: v_dual_add_nc_u32 v15, -16, v2
	v_subrev_nc_u32_e32 v17, 32, v2
	v_subrev_nc_u32_e32 v19, 64, v2
	v_add_nc_u32_e32 v21, 0xffffff80, v2
	v_add_nc_u32_e32 v23, 0xffffff00, v2
	v_add_nc_u32_e32 v25, 0xfffffe00, v2
	v_add_nc_u32_e32 v27, 0xfffffc00, v2
	v_add_nc_u32_e32 v29, 0xfffff800, v2
	v_add_nc_u32_e32 v31, 0xfffff000, v2
	v_cmp_ne_u32_e64 s0, 0x3ff, v0
	s_add_nc_u64 s[36:37], s[8:9], s[34:35]
	s_lshl_b64 s[4:5], s[16:17], 3
	s_add_nc_u64 s[6:7], s[8:9], s[2:3]
	s_add_nc_u64 s[2:3], s[36:37], s[4:5]
	;; [unrolled: 1-line block ×3, first 2 shown]
	s_mov_b64 s[6:7], 0
	s_branch .LBB5_3
.LBB5_2:                                ;   in Loop: Header=BB5_3 Depth=1
	s_wait_xcnt 0x0
	s_or_b32 exec_lo, exec_lo, s1
	s_add_nc_u64 s[6:7], s[6:7], 0x400
	v_add_nc_u64_e32 v[4:5], 0x2000, v[4:5]
	v_cmp_ge_i64_e64 s1, s[6:7], s[14:15]
	v_add_nc_u64_e32 v[6:7], 0x2000, v[6:7]
	s_wait_storecnt 0x0
	s_barrier_signal -1
	s_barrier_wait -1
	s_and_b32 vcc_lo, exec_lo, s1
	s_cbranch_vccnz .LBB5_52
.LBB5_3:                                ; =>This Inner Loop Header: Depth=1
	v_add_nc_u64_e32 v[8:9], s[6:7], v[0:1]
	v_dual_mov_b32 v10, 0 :: v_dual_mov_b32 v11, 0
	s_delay_alu instid0(VALU_DEP_2)
	v_cmp_gt_i64_e32 vcc_lo, s[14:15], v[8:9]
	v_mov_b64_e32 v[8:9], -1
	s_and_saveexec_b32 s1, vcc_lo
	s_cbranch_execz .LBB5_5
; %bb.4:                                ;   in Loop: Header=BB5_3 Depth=1
	global_load_b64 v[8:9], v[4:5], off
	global_load_b64 v[10:11], v[6:7], off
.LBB5_5:                                ;   in Loop: Header=BB5_3 Depth=1
	s_wait_xcnt 0x0
	s_or_b32 exec_lo, exec_lo, s1
	s_wait_loadcnt 0x1
	ds_store_b64 v2, v[8:9]
	s_wait_loadcnt 0x0
	ds_store_b64 v12, v[10:11]
	v_dual_mov_b32 v8, 0 :: v_dual_mov_b32 v10, 0
	v_mov_b32_e32 v11, 0
	s_wait_dscnt 0x0
	s_barrier_signal -1
	s_barrier_wait -1
	s_and_saveexec_b32 s1, s19
	s_cbranch_execz .LBB5_9
; %bb.6:                                ;   in Loop: Header=BB5_3 Depth=1
	ds_load_2addr_b64 v[34:37], v13 offset1:1
	v_dual_mov_b32 v11, 0 :: v_dual_mov_b32 v10, 0
	s_mov_b32 s8, exec_lo
	s_wait_dscnt 0x0
	v_cmpx_eq_u64_e64 v[36:37], v[34:35]
; %bb.7:                                ;   in Loop: Header=BB5_3 Depth=1
	ds_load_b64 v[10:11], v14
; %bb.8:                                ;   in Loop: Header=BB5_3 Depth=1
	s_or_b32 exec_lo, exec_lo, s8
.LBB5_9:                                ;   in Loop: Header=BB5_3 Depth=1
	s_delay_alu instid0(SALU_CYCLE_1)
	s_or_b32 exec_lo, exec_lo, s1
	s_wait_dscnt 0x0
	s_barrier_signal -1
	s_barrier_wait -1
	ds_load_b64 v[34:35], v12
	v_mov_b32_e32 v9, 0
	s_wait_dscnt 0x0
	v_pk_add_f32 v[10:11], v[10:11], v[34:35]
	ds_store_b64 v12, v[10:11]
	s_wait_dscnt 0x0
	s_barrier_signal -1
	s_barrier_wait -1
	s_and_saveexec_b32 s1, s20
	s_cbranch_execz .LBB5_13
; %bb.10:                               ;   in Loop: Header=BB5_3 Depth=1
	ds_load_b64 v[8:9], v2
	ds_load_b64 v[10:11], v15
	s_wait_dscnt 0x0
	v_cmp_eq_u64_e32 vcc_lo, v[8:9], v[10:11]
	v_dual_mov_b32 v9, 0 :: v_dual_mov_b32 v8, 0
	s_and_saveexec_b32 s8, vcc_lo
; %bb.11:                               ;   in Loop: Header=BB5_3 Depth=1
	ds_load_b64 v[8:9], v16
; %bb.12:                               ;   in Loop: Header=BB5_3 Depth=1
	s_or_b32 exec_lo, exec_lo, s8
.LBB5_13:                               ;   in Loop: Header=BB5_3 Depth=1
	s_delay_alu instid0(SALU_CYCLE_1)
	s_or_b32 exec_lo, exec_lo, s1
	s_wait_dscnt 0x0
	s_barrier_signal -1
	s_barrier_wait -1
	ds_load_b64 v[10:11], v12
	s_wait_dscnt 0x0
	v_pk_add_f32 v[34:35], v[8:9], v[10:11]
	v_dual_mov_b32 v8, 0 :: v_dual_mov_b32 v10, 0
	v_mov_b32_e32 v11, 0
	ds_store_b64 v12, v[34:35]
	s_wait_dscnt 0x0
	s_barrier_signal -1
	s_barrier_wait -1
	s_and_saveexec_b32 s1, s21
	s_cbranch_execz .LBB5_17
; %bb.14:                               ;   in Loop: Header=BB5_3 Depth=1
	ds_load_b64 v[10:11], v2
	ds_load_b64 v[34:35], v17
	s_wait_dscnt 0x0
	v_cmp_eq_u64_e32 vcc_lo, v[10:11], v[34:35]
	v_dual_mov_b32 v11, 0 :: v_dual_mov_b32 v10, 0
	s_and_saveexec_b32 s8, vcc_lo
; %bb.15:                               ;   in Loop: Header=BB5_3 Depth=1
	ds_load_b64 v[10:11], v18
; %bb.16:                               ;   in Loop: Header=BB5_3 Depth=1
	s_or_b32 exec_lo, exec_lo, s8
.LBB5_17:                               ;   in Loop: Header=BB5_3 Depth=1
	s_delay_alu instid0(SALU_CYCLE_1)
	s_or_b32 exec_lo, exec_lo, s1
	s_wait_dscnt 0x0
	s_barrier_signal -1
	s_barrier_wait -1
	ds_load_b64 v[34:35], v12
	v_mov_b32_e32 v9, 0
	s_wait_dscnt 0x0
	v_pk_add_f32 v[10:11], v[10:11], v[34:35]
	ds_store_b64 v12, v[10:11]
	s_wait_dscnt 0x0
	s_barrier_signal -1
	s_barrier_wait -1
	s_and_saveexec_b32 s1, s22
	s_cbranch_execz .LBB5_21
; %bb.18:                               ;   in Loop: Header=BB5_3 Depth=1
	ds_load_b64 v[8:9], v2
	ds_load_b64 v[10:11], v19
	s_wait_dscnt 0x0
	v_cmp_eq_u64_e32 vcc_lo, v[8:9], v[10:11]
	v_dual_mov_b32 v9, 0 :: v_dual_mov_b32 v8, 0
	s_and_saveexec_b32 s8, vcc_lo
; %bb.19:                               ;   in Loop: Header=BB5_3 Depth=1
	ds_load_b64 v[8:9], v20
; %bb.20:                               ;   in Loop: Header=BB5_3 Depth=1
	s_or_b32 exec_lo, exec_lo, s8
.LBB5_21:                               ;   in Loop: Header=BB5_3 Depth=1
	s_delay_alu instid0(SALU_CYCLE_1)
	s_or_b32 exec_lo, exec_lo, s1
	s_wait_dscnt 0x0
	s_barrier_signal -1
	s_barrier_wait -1
	ds_load_b64 v[10:11], v12
	s_wait_dscnt 0x0
	v_pk_add_f32 v[34:35], v[8:9], v[10:11]
	v_dual_mov_b32 v8, 0 :: v_dual_mov_b32 v10, 0
	v_mov_b32_e32 v11, 0
	ds_store_b64 v12, v[34:35]
	s_wait_dscnt 0x0
	s_barrier_signal -1
	s_barrier_wait -1
	s_and_saveexec_b32 s1, s23
	s_cbranch_execz .LBB5_25
; %bb.22:                               ;   in Loop: Header=BB5_3 Depth=1
	ds_load_b64 v[10:11], v2
	ds_load_b64 v[34:35], v21
	s_wait_dscnt 0x0
	v_cmp_eq_u64_e32 vcc_lo, v[10:11], v[34:35]
	v_dual_mov_b32 v11, 0 :: v_dual_mov_b32 v10, 0
	s_and_saveexec_b32 s8, vcc_lo
; %bb.23:                               ;   in Loop: Header=BB5_3 Depth=1
	ds_load_b64 v[10:11], v22
; %bb.24:                               ;   in Loop: Header=BB5_3 Depth=1
	s_or_b32 exec_lo, exec_lo, s8
.LBB5_25:                               ;   in Loop: Header=BB5_3 Depth=1
	s_delay_alu instid0(SALU_CYCLE_1)
	s_or_b32 exec_lo, exec_lo, s1
	s_wait_dscnt 0x0
	s_barrier_signal -1
	s_barrier_wait -1
	ds_load_b64 v[34:35], v12
	v_mov_b32_e32 v9, 0
	s_wait_dscnt 0x0
	v_pk_add_f32 v[10:11], v[10:11], v[34:35]
	ds_store_b64 v12, v[10:11]
	s_wait_dscnt 0x0
	s_barrier_signal -1
	s_barrier_wait -1
	s_and_saveexec_b32 s1, s24
	s_cbranch_execz .LBB5_29
; %bb.26:                               ;   in Loop: Header=BB5_3 Depth=1
	ds_load_b64 v[8:9], v2
	ds_load_b64 v[10:11], v23
	s_wait_dscnt 0x0
	v_cmp_eq_u64_e32 vcc_lo, v[8:9], v[10:11]
	v_dual_mov_b32 v9, 0 :: v_dual_mov_b32 v8, 0
	s_and_saveexec_b32 s8, vcc_lo
; %bb.27:                               ;   in Loop: Header=BB5_3 Depth=1
	ds_load_b64 v[8:9], v24
; %bb.28:                               ;   in Loop: Header=BB5_3 Depth=1
	s_or_b32 exec_lo, exec_lo, s8
.LBB5_29:                               ;   in Loop: Header=BB5_3 Depth=1
	s_delay_alu instid0(SALU_CYCLE_1)
	s_or_b32 exec_lo, exec_lo, s1
	s_wait_dscnt 0x0
	s_barrier_signal -1
	s_barrier_wait -1
	ds_load_b64 v[10:11], v12
	s_wait_dscnt 0x0
	v_pk_add_f32 v[34:35], v[8:9], v[10:11]
	v_dual_mov_b32 v8, 0 :: v_dual_mov_b32 v10, 0
	v_mov_b32_e32 v11, 0
	ds_store_b64 v12, v[34:35]
	s_wait_dscnt 0x0
	s_barrier_signal -1
	s_barrier_wait -1
	s_and_saveexec_b32 s1, s25
	s_cbranch_execz .LBB5_33
; %bb.30:                               ;   in Loop: Header=BB5_3 Depth=1
	ds_load_b64 v[10:11], v2
	ds_load_b64 v[34:35], v25
	s_wait_dscnt 0x0
	v_cmp_eq_u64_e32 vcc_lo, v[10:11], v[34:35]
	v_dual_mov_b32 v11, 0 :: v_dual_mov_b32 v10, 0
	s_and_saveexec_b32 s8, vcc_lo
; %bb.31:                               ;   in Loop: Header=BB5_3 Depth=1
	ds_load_b64 v[10:11], v26
; %bb.32:                               ;   in Loop: Header=BB5_3 Depth=1
	s_or_b32 exec_lo, exec_lo, s8
.LBB5_33:                               ;   in Loop: Header=BB5_3 Depth=1
	s_delay_alu instid0(SALU_CYCLE_1)
	s_or_b32 exec_lo, exec_lo, s1
	s_wait_dscnt 0x0
	s_barrier_signal -1
	s_barrier_wait -1
	ds_load_b64 v[34:35], v12
	v_mov_b32_e32 v9, 0
	s_wait_dscnt 0x0
	v_pk_add_f32 v[10:11], v[10:11], v[34:35]
	ds_store_b64 v12, v[10:11]
	s_wait_dscnt 0x0
	s_barrier_signal -1
	s_barrier_wait -1
	s_and_saveexec_b32 s1, s26
	s_cbranch_execz .LBB5_37
; %bb.34:                               ;   in Loop: Header=BB5_3 Depth=1
	ds_load_b64 v[8:9], v2
	ds_load_b64 v[10:11], v27
	s_wait_dscnt 0x0
	v_cmp_eq_u64_e32 vcc_lo, v[8:9], v[10:11]
	v_dual_mov_b32 v9, 0 :: v_dual_mov_b32 v8, 0
	s_and_saveexec_b32 s8, vcc_lo
; %bb.35:                               ;   in Loop: Header=BB5_3 Depth=1
	ds_load_b64 v[8:9], v28
; %bb.36:                               ;   in Loop: Header=BB5_3 Depth=1
	s_or_b32 exec_lo, exec_lo, s8
.LBB5_37:                               ;   in Loop: Header=BB5_3 Depth=1
	s_delay_alu instid0(SALU_CYCLE_1)
	s_or_b32 exec_lo, exec_lo, s1
	s_wait_dscnt 0x0
	s_barrier_signal -1
	s_barrier_wait -1
	ds_load_b64 v[10:11], v12
	s_wait_dscnt 0x0
	v_pk_add_f32 v[34:35], v[8:9], v[10:11]
	v_dual_mov_b32 v8, 0 :: v_dual_mov_b32 v10, 0
	v_mov_b32_e32 v11, 0
	ds_store_b64 v12, v[34:35]
	s_wait_dscnt 0x0
	s_barrier_signal -1
	s_barrier_wait -1
	s_and_saveexec_b32 s1, s27
	s_cbranch_execz .LBB5_41
; %bb.38:                               ;   in Loop: Header=BB5_3 Depth=1
	ds_load_b64 v[10:11], v2
	ds_load_b64 v[34:35], v29
	s_wait_dscnt 0x0
	v_cmp_eq_u64_e32 vcc_lo, v[10:11], v[34:35]
	v_dual_mov_b32 v11, 0 :: v_dual_mov_b32 v10, 0
	s_and_saveexec_b32 s8, vcc_lo
; %bb.39:                               ;   in Loop: Header=BB5_3 Depth=1
	ds_load_b64 v[10:11], v30
; %bb.40:                               ;   in Loop: Header=BB5_3 Depth=1
	s_or_b32 exec_lo, exec_lo, s8
.LBB5_41:                               ;   in Loop: Header=BB5_3 Depth=1
	s_delay_alu instid0(SALU_CYCLE_1)
	s_or_b32 exec_lo, exec_lo, s1
	s_wait_dscnt 0x0
	s_barrier_signal -1
	s_barrier_wait -1
	ds_load_b64 v[34:35], v12
	v_mov_b32_e32 v9, 0
	s_wait_dscnt 0x0
	v_pk_add_f32 v[10:11], v[10:11], v[34:35]
	ds_store_b64 v12, v[10:11]
	s_wait_dscnt 0x0
	s_barrier_signal -1
	s_barrier_wait -1
	s_and_saveexec_b32 s1, s28
	s_cbranch_execz .LBB5_45
; %bb.42:                               ;   in Loop: Header=BB5_3 Depth=1
	ds_load_b64 v[8:9], v2
	ds_load_b64 v[10:11], v31
	s_wait_dscnt 0x0
	v_cmp_eq_u64_e32 vcc_lo, v[8:9], v[10:11]
	v_dual_mov_b32 v9, 0 :: v_dual_mov_b32 v8, 0
	s_and_saveexec_b32 s8, vcc_lo
; %bb.43:                               ;   in Loop: Header=BB5_3 Depth=1
	ds_load_b64 v[8:9], v32
; %bb.44:                               ;   in Loop: Header=BB5_3 Depth=1
	s_or_b32 exec_lo, exec_lo, s8
.LBB5_45:                               ;   in Loop: Header=BB5_3 Depth=1
	s_delay_alu instid0(SALU_CYCLE_1)
	s_or_b32 exec_lo, exec_lo, s1
	s_wait_dscnt 0x0
	s_barrier_signal -1
	s_barrier_wait -1
	ds_load_b64 v[10:11], v12
	s_wait_dscnt 0x0
	v_pk_add_f32 v[8:9], v[8:9], v[10:11]
	v_mov_b64_e32 v[10:11], -1
	ds_store_b64 v12, v[8:9]
	s_wait_dscnt 0x0
	s_barrier_signal -1
	s_barrier_wait -1
	ds_load_b64 v[8:9], v2
	s_and_saveexec_b32 s1, s0
; %bb.46:                               ;   in Loop: Header=BB5_3 Depth=1
	ds_load_b64 v[10:11], v2 offset:8
; %bb.47:                               ;   in Loop: Header=BB5_3 Depth=1
	s_or_b32 exec_lo, exec_lo, s1
	s_wait_dscnt 0x0
	v_cmp_ne_u64_e32 vcc_lo, v[8:9], v[10:11]
	v_cmp_lt_i64_e64 s1, -1, v[8:9]
	s_and_b32 s8, s1, vcc_lo
	s_delay_alu instid0(SALU_CYCLE_1)
	s_and_saveexec_b32 s1, s8
	s_cbranch_execz .LBB5_2
; %bb.48:                               ;   in Loop: Header=BB5_3 Depth=1
	s_and_b32 vcc_lo, exec_lo, s18
	s_mov_b32 s8, -1
	s_cbranch_vccz .LBB5_50
; %bb.49:                               ;   in Loop: Header=BB5_3 Depth=1
	v_mul_u64_e32 v[10:11], s[10:11], v[8:9]
	ds_load_b64 v[36:37], v12
	s_mov_b32 s8, 0
	v_lshl_add_u64 v[10:11], v[10:11], 3, s[2:3]
	global_load_b64 v[34:35], v[10:11], off
	s_wait_loadcnt_dscnt 0x0
	v_pk_add_f32 v[34:35], v[36:37], v[34:35]
	global_store_b64 v[10:11], v[34:35], off
.LBB5_50:                               ;   in Loop: Header=BB5_3 Depth=1
	s_and_not1_b32 vcc_lo, exec_lo, s8
	s_cbranch_vccnz .LBB5_2
; %bb.51:                               ;   in Loop: Header=BB5_3 Depth=1
	v_lshl_add_u64 v[8:9], v[8:9], 3, s[4:5]
	s_wait_xcnt 0x0
	ds_load_b64 v[34:35], v12
	global_load_b64 v[10:11], v[8:9], off
	s_wait_loadcnt_dscnt 0x0
	v_pk_add_f32 v[10:11], v[34:35], v[10:11]
	global_store_b64 v[8:9], v[10:11], off
	s_branch .LBB5_2
.LBB5_52:
	s_endpgm
	.section	.rodata,"a",@progbits
	.p2align	6, 0x0
	.amdhsa_kernel _ZN9rocsparseL28coommnn_general_block_reduceILj1024E21rocsparse_complex_numIfElS2_EEvT1_S3_PKS3_PKT0_PT2_ll16rocsparse_order_
		.amdhsa_group_segment_fixed_size 16384
		.amdhsa_private_segment_fixed_size 0
		.amdhsa_kernarg_size 60
		.amdhsa_user_sgpr_count 2
		.amdhsa_user_sgpr_dispatch_ptr 0
		.amdhsa_user_sgpr_queue_ptr 0
		.amdhsa_user_sgpr_kernarg_segment_ptr 1
		.amdhsa_user_sgpr_dispatch_id 0
		.amdhsa_user_sgpr_kernarg_preload_length 0
		.amdhsa_user_sgpr_kernarg_preload_offset 0
		.amdhsa_user_sgpr_private_segment_size 0
		.amdhsa_wavefront_size32 1
		.amdhsa_uses_dynamic_stack 0
		.amdhsa_enable_private_segment 0
		.amdhsa_system_sgpr_workgroup_id_x 1
		.amdhsa_system_sgpr_workgroup_id_y 0
		.amdhsa_system_sgpr_workgroup_id_z 1
		.amdhsa_system_sgpr_workgroup_info 0
		.amdhsa_system_vgpr_workitem_id 0
		.amdhsa_next_free_vgpr 38
		.amdhsa_next_free_sgpr 38
		.amdhsa_named_barrier_count 0
		.amdhsa_reserve_vcc 1
		.amdhsa_float_round_mode_32 0
		.amdhsa_float_round_mode_16_64 0
		.amdhsa_float_denorm_mode_32 3
		.amdhsa_float_denorm_mode_16_64 3
		.amdhsa_fp16_overflow 0
		.amdhsa_memory_ordered 1
		.amdhsa_forward_progress 1
		.amdhsa_inst_pref_size 18
		.amdhsa_round_robin_scheduling 0
		.amdhsa_exception_fp_ieee_invalid_op 0
		.amdhsa_exception_fp_denorm_src 0
		.amdhsa_exception_fp_ieee_div_zero 0
		.amdhsa_exception_fp_ieee_overflow 0
		.amdhsa_exception_fp_ieee_underflow 0
		.amdhsa_exception_fp_ieee_inexact 0
		.amdhsa_exception_int_div_zero 0
	.end_amdhsa_kernel
	.section	.text._ZN9rocsparseL28coommnn_general_block_reduceILj1024E21rocsparse_complex_numIfElS2_EEvT1_S3_PKS3_PKT0_PT2_ll16rocsparse_order_,"axG",@progbits,_ZN9rocsparseL28coommnn_general_block_reduceILj1024E21rocsparse_complex_numIfElS2_EEvT1_S3_PKS3_PKT0_PT2_ll16rocsparse_order_,comdat
.Lfunc_end5:
	.size	_ZN9rocsparseL28coommnn_general_block_reduceILj1024E21rocsparse_complex_numIfElS2_EEvT1_S3_PKS3_PKT0_PT2_ll16rocsparse_order_, .Lfunc_end5-_ZN9rocsparseL28coommnn_general_block_reduceILj1024E21rocsparse_complex_numIfElS2_EEvT1_S3_PKS3_PKT0_PT2_ll16rocsparse_order_
                                        ; -- End function
	.set _ZN9rocsparseL28coommnn_general_block_reduceILj1024E21rocsparse_complex_numIfElS2_EEvT1_S3_PKS3_PKT0_PT2_ll16rocsparse_order_.num_vgpr, 38
	.set _ZN9rocsparseL28coommnn_general_block_reduceILj1024E21rocsparse_complex_numIfElS2_EEvT1_S3_PKS3_PKT0_PT2_ll16rocsparse_order_.num_agpr, 0
	.set _ZN9rocsparseL28coommnn_general_block_reduceILj1024E21rocsparse_complex_numIfElS2_EEvT1_S3_PKS3_PKT0_PT2_ll16rocsparse_order_.numbered_sgpr, 38
	.set _ZN9rocsparseL28coommnn_general_block_reduceILj1024E21rocsparse_complex_numIfElS2_EEvT1_S3_PKS3_PKT0_PT2_ll16rocsparse_order_.num_named_barrier, 0
	.set _ZN9rocsparseL28coommnn_general_block_reduceILj1024E21rocsparse_complex_numIfElS2_EEvT1_S3_PKS3_PKT0_PT2_ll16rocsparse_order_.private_seg_size, 0
	.set _ZN9rocsparseL28coommnn_general_block_reduceILj1024E21rocsparse_complex_numIfElS2_EEvT1_S3_PKS3_PKT0_PT2_ll16rocsparse_order_.uses_vcc, 1
	.set _ZN9rocsparseL28coommnn_general_block_reduceILj1024E21rocsparse_complex_numIfElS2_EEvT1_S3_PKS3_PKT0_PT2_ll16rocsparse_order_.uses_flat_scratch, 0
	.set _ZN9rocsparseL28coommnn_general_block_reduceILj1024E21rocsparse_complex_numIfElS2_EEvT1_S3_PKS3_PKT0_PT2_ll16rocsparse_order_.has_dyn_sized_stack, 0
	.set _ZN9rocsparseL28coommnn_general_block_reduceILj1024E21rocsparse_complex_numIfElS2_EEvT1_S3_PKS3_PKT0_PT2_ll16rocsparse_order_.has_recursion, 0
	.set _ZN9rocsparseL28coommnn_general_block_reduceILj1024E21rocsparse_complex_numIfElS2_EEvT1_S3_PKS3_PKT0_PT2_ll16rocsparse_order_.has_indirect_call, 0
	.section	.AMDGPU.csdata,"",@progbits
; Kernel info:
; codeLenInByte = 2216
; TotalNumSgprs: 40
; NumVgprs: 38
; ScratchSize: 0
; MemoryBound: 0
; FloatMode: 240
; IeeeMode: 1
; LDSByteSize: 16384 bytes/workgroup (compile time only)
; SGPRBlocks: 0
; VGPRBlocks: 2
; NumSGPRsForWavesPerEU: 40
; NumVGPRsForWavesPerEU: 38
; NamedBarCnt: 0
; Occupancy: 16
; WaveLimiterHint : 0
; COMPUTE_PGM_RSRC2:SCRATCH_EN: 0
; COMPUTE_PGM_RSRC2:USER_SGPR: 2
; COMPUTE_PGM_RSRC2:TRAP_HANDLER: 0
; COMPUTE_PGM_RSRC2:TGID_X_EN: 1
; COMPUTE_PGM_RSRC2:TGID_Y_EN: 0
; COMPUTE_PGM_RSRC2:TGID_Z_EN: 1
; COMPUTE_PGM_RSRC2:TIDIG_COMP_CNT: 0
	.section	.text._ZN9rocsparseL28coommnn_general_block_reduceILj1024E21rocsparse_complex_numIdEiS2_EEvT1_S3_PKS3_PKT0_PT2_ll16rocsparse_order_,"axG",@progbits,_ZN9rocsparseL28coommnn_general_block_reduceILj1024E21rocsparse_complex_numIdEiS2_EEvT1_S3_PKS3_PKT0_PT2_ll16rocsparse_order_,comdat
	.globl	_ZN9rocsparseL28coommnn_general_block_reduceILj1024E21rocsparse_complex_numIdEiS2_EEvT1_S3_PKS3_PKT0_PT2_ll16rocsparse_order_ ; -- Begin function _ZN9rocsparseL28coommnn_general_block_reduceILj1024E21rocsparse_complex_numIdEiS2_EEvT1_S3_PKS3_PKT0_PT2_ll16rocsparse_order_
	.p2align	8
	.type	_ZN9rocsparseL28coommnn_general_block_reduceILj1024E21rocsparse_complex_numIdEiS2_EEvT1_S3_PKS3_PKT0_PT2_ll16rocsparse_order_,@function
_ZN9rocsparseL28coommnn_general_block_reduceILj1024E21rocsparse_complex_numIdEiS2_EEvT1_S3_PKS3_PKT0_PT2_ll16rocsparse_order_: ; @_ZN9rocsparseL28coommnn_general_block_reduceILj1024E21rocsparse_complex_numIdEiS2_EEvT1_S3_PKS3_PKT0_PT2_ll16rocsparse_order_
; %bb.0:
	s_load_b64 s[2:3], s[0:1], 0x0
	s_wait_kmcnt 0x0
	s_cmp_lt_i32 s3, 1
	s_cbranch_scc1 .LBB6_52
; %bb.1:
	s_bfe_u32 s12, ttmp6, 0x4000c
	s_bfe_u32 s14, ttmp6, 0x40014
	s_add_co_i32 s12, s12, 1
	s_and_b32 s13, ttmp6, 15
	s_mul_i32 s12, ttmp9, s12
	s_lshr_b32 s15, ttmp7, 16
	s_add_co_i32 s14, s14, 1
	s_add_co_i32 s17, s13, s12
	s_mul_i32 s12, s15, s14
	s_bfe_u32 s13, ttmp6, 0x40008
	s_getreg_b32 s14, hwreg(HW_REG_IB_STS2, 6, 4)
	s_add_co_i32 s16, s13, s12
	s_cmp_eq_u32 s14, 0
	s_load_b256 s[4:11], s[0:1], 0x8
	s_cselect_b32 s16, s15, s16
	s_load_b96 s[12:14], s[0:1], 0x28
	s_wait_xcnt 0x0
	s_mul_i32 s0, s2, s16
	s_cselect_b32 s26, ttmp9, s17
	v_sub_co_u32 v3, s15, v0, 2
	s_add_co_i32 s1, s0, s26
	v_sub_co_u32 v2, s0, v0, 1
	s_xor_b32 s2, s0, -1
	v_lshl_add_u32 v15, v3, 2, 0x4000
	v_sub_co_u32 v3, s19, v0, 8
	v_lshl_add_u32 v13, v2, 2, 0x4000
	v_sub_co_u32 v2, s0, v0, 4
	s_xor_b32 s18, s0, -1
	v_lshl_add_u32 v19, v3, 2, 0x4000
	v_sub_co_u32 v3, s21, v0, 32
	v_lshl_add_u32 v17, v2, 2, 0x4000
	v_sub_co_u32 v2, s0, v0, 16
	s_xor_b32 s20, s0, -1
	v_lshl_add_u32 v23, v3, 2, 0x4000
	v_subrev_co_u32 v3, s23, 0x80, v0
	v_lshl_add_u32 v21, v2, 2, 0x4000
	v_sub_co_u32 v2, s0, v0, 64
	s_xor_b32 s22, s0, -1
	v_lshl_add_u32 v27, v3, 2, 0x4000
	v_subrev_co_u32 v3, s25, 0x200, v0
	v_lshl_add_u32 v25, v2, 2, 0x4000
	v_subrev_co_u32 v2, s0, 0x100, v0
	s_xor_b32 s15, s15, -1
	s_xor_b32 s19, s19, -1
	;; [unrolled: 1-line block ×6, first 2 shown]
	s_wait_kmcnt 0x0
	s_cmp_lg_u32 s14, 1
	v_mad_u32 v33, s3, s16, v0
	v_mad_u32 v34, s1, s3, v0
	v_dual_mov_b32 v11, 0 :: v_dual_lshlrev_b32 v12, 4, v0
	s_cselect_b32 s14, -1, 0
	s_ashr_i32 s27, s26, 31
	s_mov_b32 s17, 0
	s_lshl_b64 s[28:29], s[26:27], 4
	s_mul_u64 s[26:27], s[10:11], s[26:27]
	s_mul_u64 s[12:13], s[12:13], s[16:17]
	s_lshl_b64 s[26:27], s[26:27], 4
	v_lshl_or_b32 v1, v0, 2, 0x4000
	v_add_nc_u32_e32 v14, -16, v12
	v_subrev_nc_u32_e32 v16, 32, v12
	v_subrev_nc_u32_e32 v18, 64, v12
	v_add_nc_u32_e32 v20, 0xffffff80, v12
	v_add_nc_u32_e32 v22, 0xffffff00, v12
	;; [unrolled: 1-line block ×5, first 2 shown]
	v_lshl_add_u32 v29, v2, 2, 0x4000
	v_add_nc_u32_e32 v30, 0xfffff000, v12
	v_lshl_add_u32 v31, v3, 2, 0x4000
	v_add_nc_u32_e32 v32, 0xffffe000, v12
	v_cmp_ne_u32_e64 s0, 0x3ff, v0
	s_add_nc_u64 s[28:29], s[8:9], s[28:29]
	s_lshl_b64 s[12:13], s[12:13], 4
	s_add_nc_u64 s[26:27], s[8:9], s[26:27]
	s_add_nc_u64 s[8:9], s[28:29], s[12:13]
	;; [unrolled: 1-line block ×3, first 2 shown]
	s_branch .LBB6_3
.LBB6_2:                                ;   in Loop: Header=BB6_3 Depth=1
	s_wait_xcnt 0x0
	s_or_b32 exec_lo, exec_lo, s1
	s_addk_co_i32 s17, 0x400
	s_wait_storecnt 0x0
	s_cmp_ge_i32 s17, s3
	s_barrier_signal -1
	s_barrier_wait -1
	s_cbranch_scc1 .LBB6_52
.LBB6_3:                                ; =>This Inner Loop Header: Depth=1
	v_mov_b64_e32 v[4:5], 0
	v_mov_b64_e32 v[8:9], 0
	;; [unrolled: 1-line block ×3, first 2 shown]
	v_dual_add_nc_u32 v2, s17, v0 :: v_dual_mov_b32 v10, -1
	s_mov_b32 s1, exec_lo
	s_delay_alu instid0(VALU_DEP_1)
	v_cmpx_gt_i32_e64 s3, v2
	s_cbranch_execz .LBB6_5
; %bb.4:                                ;   in Loop: Header=BB6_3 Depth=1
	v_dual_add_nc_u32 v2, s17, v33 :: v_dual_add_nc_u32 v3, s17, v34
	global_load_b32 v10, v2, s[4:5] scale_offset
	global_load_b128 v[6:9], v3, s[6:7] scale_offset
.LBB6_5:                                ;   in Loop: Header=BB6_3 Depth=1
	s_wait_xcnt 0x0
	s_or_b32 exec_lo, exec_lo, s1
	v_mov_b64_e32 v[2:3], 0
	s_wait_loadcnt 0x1
	ds_store_b32 v1, v10
	s_wait_loadcnt 0x0
	ds_store_b128 v12, v[6:9]
	s_wait_dscnt 0x0
	s_barrier_signal -1
	s_barrier_wait -1
	s_and_saveexec_b32 s1, s2
	s_cbranch_execz .LBB6_9
; %bb.6:                                ;   in Loop: Header=BB6_3 Depth=1
	ds_load_2addr_b32 v[6:7], v13 offset1:1
	v_mov_b64_e32 v[2:3], 0
	v_mov_b64_e32 v[4:5], 0
	s_mov_b32 s16, exec_lo
	s_wait_dscnt 0x0
	v_cmpx_eq_u32_e64 v7, v6
; %bb.7:                                ;   in Loop: Header=BB6_3 Depth=1
	ds_load_b128 v[2:5], v14
; %bb.8:                                ;   in Loop: Header=BB6_3 Depth=1
	s_or_b32 exec_lo, exec_lo, s16
.LBB6_9:                                ;   in Loop: Header=BB6_3 Depth=1
	s_delay_alu instid0(SALU_CYCLE_1)
	s_or_b32 exec_lo, exec_lo, s1
	s_wait_dscnt 0x0
	s_barrier_signal -1
	s_barrier_wait -1
	ds_load_b128 v[6:9], v12
	s_wait_dscnt 0x0
	v_add_f64_e32 v[36:37], v[2:3], v[6:7]
	v_add_f64_e32 v[38:39], v[4:5], v[8:9]
	v_mov_b64_e32 v[4:5], 0
	v_mov_b64_e32 v[8:9], 0
	v_mov_b64_e32 v[6:7], 0
	ds_store_b128 v12, v[36:39]
	s_wait_dscnt 0x0
	s_barrier_signal -1
	s_barrier_wait -1
	s_and_saveexec_b32 s1, s15
	s_cbranch_execz .LBB6_13
; %bb.10:                               ;   in Loop: Header=BB6_3 Depth=1
	ds_load_b32 v2, v1
	ds_load_b32 v3, v15
	v_mov_b64_e32 v[6:7], 0
	v_mov_b64_e32 v[8:9], 0
	s_mov_b32 s16, exec_lo
	s_wait_dscnt 0x0
	v_cmpx_eq_u32_e64 v2, v3
; %bb.11:                               ;   in Loop: Header=BB6_3 Depth=1
	ds_load_b128 v[6:9], v16
; %bb.12:                               ;   in Loop: Header=BB6_3 Depth=1
	s_or_b32 exec_lo, exec_lo, s16
.LBB6_13:                               ;   in Loop: Header=BB6_3 Depth=1
	s_delay_alu instid0(SALU_CYCLE_1)
	s_or_b32 exec_lo, exec_lo, s1
	s_wait_dscnt 0x0
	s_barrier_signal -1
	s_barrier_wait -1
	ds_load_b128 v[36:39], v12
	v_mov_b64_e32 v[2:3], 0
	s_wait_dscnt 0x0
	v_add_f64_e32 v[6:7], v[6:7], v[36:37]
	v_add_f64_e32 v[8:9], v[8:9], v[38:39]
	ds_store_b128 v12, v[6:9]
	s_wait_dscnt 0x0
	s_barrier_signal -1
	s_barrier_wait -1
	s_and_saveexec_b32 s1, s18
	s_cbranch_execz .LBB6_17
; %bb.14:                               ;   in Loop: Header=BB6_3 Depth=1
	ds_load_b32 v6, v1
	ds_load_b32 v7, v17
	v_mov_b64_e32 v[2:3], 0
	v_mov_b64_e32 v[4:5], 0
	s_mov_b32 s16, exec_lo
	s_wait_dscnt 0x0
	v_cmpx_eq_u32_e64 v6, v7
; %bb.15:                               ;   in Loop: Header=BB6_3 Depth=1
	ds_load_b128 v[2:5], v18
; %bb.16:                               ;   in Loop: Header=BB6_3 Depth=1
	s_or_b32 exec_lo, exec_lo, s16
.LBB6_17:                               ;   in Loop: Header=BB6_3 Depth=1
	s_delay_alu instid0(SALU_CYCLE_1)
	s_or_b32 exec_lo, exec_lo, s1
	s_wait_dscnt 0x0
	s_barrier_signal -1
	s_barrier_wait -1
	ds_load_b128 v[6:9], v12
	s_wait_dscnt 0x0
	v_add_f64_e32 v[36:37], v[2:3], v[6:7]
	v_add_f64_e32 v[38:39], v[4:5], v[8:9]
	v_mov_b64_e32 v[4:5], 0
	v_mov_b64_e32 v[8:9], 0
	v_mov_b64_e32 v[6:7], 0
	ds_store_b128 v12, v[36:39]
	s_wait_dscnt 0x0
	s_barrier_signal -1
	s_barrier_wait -1
	s_and_saveexec_b32 s1, s19
	s_cbranch_execz .LBB6_21
; %bb.18:                               ;   in Loop: Header=BB6_3 Depth=1
	ds_load_b32 v2, v1
	ds_load_b32 v3, v19
	v_mov_b64_e32 v[6:7], 0
	v_mov_b64_e32 v[8:9], 0
	s_mov_b32 s16, exec_lo
	s_wait_dscnt 0x0
	v_cmpx_eq_u32_e64 v2, v3
; %bb.19:                               ;   in Loop: Header=BB6_3 Depth=1
	ds_load_b128 v[6:9], v20
; %bb.20:                               ;   in Loop: Header=BB6_3 Depth=1
	s_or_b32 exec_lo, exec_lo, s16
.LBB6_21:                               ;   in Loop: Header=BB6_3 Depth=1
	s_delay_alu instid0(SALU_CYCLE_1)
	s_or_b32 exec_lo, exec_lo, s1
	s_wait_dscnt 0x0
	s_barrier_signal -1
	s_barrier_wait -1
	ds_load_b128 v[36:39], v12
	v_mov_b64_e32 v[2:3], 0
	s_wait_dscnt 0x0
	v_add_f64_e32 v[6:7], v[6:7], v[36:37]
	v_add_f64_e32 v[8:9], v[8:9], v[38:39]
	ds_store_b128 v12, v[6:9]
	s_wait_dscnt 0x0
	s_barrier_signal -1
	s_barrier_wait -1
	s_and_saveexec_b32 s1, s20
	s_cbranch_execz .LBB6_25
; %bb.22:                               ;   in Loop: Header=BB6_3 Depth=1
	ds_load_b32 v6, v1
	ds_load_b32 v7, v21
	v_mov_b64_e32 v[2:3], 0
	v_mov_b64_e32 v[4:5], 0
	s_mov_b32 s16, exec_lo
	s_wait_dscnt 0x0
	v_cmpx_eq_u32_e64 v6, v7
; %bb.23:                               ;   in Loop: Header=BB6_3 Depth=1
	ds_load_b128 v[2:5], v22
; %bb.24:                               ;   in Loop: Header=BB6_3 Depth=1
	s_or_b32 exec_lo, exec_lo, s16
.LBB6_25:                               ;   in Loop: Header=BB6_3 Depth=1
	;; [unrolled: 60-line block ×4, first 2 shown]
	s_delay_alu instid0(SALU_CYCLE_1)
	s_or_b32 exec_lo, exec_lo, s1
	s_wait_dscnt 0x0
	s_barrier_signal -1
	s_barrier_wait -1
	ds_load_b128 v[6:9], v12
	s_wait_dscnt 0x0
	v_add_f64_e32 v[6:7], v[2:3], v[6:7]
	v_add_f64_e32 v[8:9], v[4:5], v[8:9]
	v_mov_b64_e32 v[4:5], 0
	v_mov_b64_e32 v[2:3], 0
	ds_store_b128 v12, v[6:9]
	s_wait_dscnt 0x0
	s_barrier_signal -1
	s_barrier_wait -1
	s_and_saveexec_b32 s1, s25
	s_cbranch_execz .LBB6_45
; %bb.42:                               ;   in Loop: Header=BB6_3 Depth=1
	ds_load_b32 v6, v1
	ds_load_b32 v7, v31
	v_mov_b64_e32 v[2:3], 0
	v_mov_b64_e32 v[4:5], 0
	s_mov_b32 s16, exec_lo
	s_wait_dscnt 0x0
	v_cmpx_eq_u32_e64 v6, v7
; %bb.43:                               ;   in Loop: Header=BB6_3 Depth=1
	ds_load_b128 v[2:5], v32
; %bb.44:                               ;   in Loop: Header=BB6_3 Depth=1
	s_or_b32 exec_lo, exec_lo, s16
.LBB6_45:                               ;   in Loop: Header=BB6_3 Depth=1
	s_delay_alu instid0(SALU_CYCLE_1)
	s_or_b32 exec_lo, exec_lo, s1
	s_wait_dscnt 0x0
	s_barrier_signal -1
	s_barrier_wait -1
	ds_load_b128 v[6:9], v12
	s_wait_dscnt 0x0
	v_add_f64_e32 v[2:3], v[2:3], v[6:7]
	v_add_f64_e32 v[4:5], v[4:5], v[8:9]
	ds_store_b128 v12, v[2:5]
	s_wait_dscnt 0x0
	s_barrier_signal -1
	s_barrier_wait -1
	ds_load_b32 v10, v1
	v_mov_b32_e32 v2, -1
	s_and_saveexec_b32 s1, s0
; %bb.46:                               ;   in Loop: Header=BB6_3 Depth=1
	ds_load_b32 v2, v1 offset:4
; %bb.47:                               ;   in Loop: Header=BB6_3 Depth=1
	s_or_b32 exec_lo, exec_lo, s1
	s_wait_dscnt 0x0
	v_cmp_ne_u32_e32 vcc_lo, v10, v2
	v_cmp_lt_i32_e64 s1, -1, v10
	s_and_b32 s16, s1, vcc_lo
	s_delay_alu instid0(SALU_CYCLE_1)
	s_and_saveexec_b32 s1, s16
	s_cbranch_execz .LBB6_2
; %bb.48:                               ;   in Loop: Header=BB6_3 Depth=1
	s_and_b32 vcc_lo, exec_lo, s14
	s_mov_b32 s16, -1
	s_cbranch_vccz .LBB6_50
; %bb.49:                               ;   in Loop: Header=BB6_3 Depth=1
	v_mul_u64_e32 v[2:3], s[10:11], v[10:11]
	ds_load_b128 v[6:9], v12
	s_mov_b32 s16, 0
	v_lshl_add_u64 v[36:37], v[2:3], 4, s[8:9]
	global_load_b128 v[2:5], v[36:37], off
	s_wait_loadcnt_dscnt 0x0
	v_add_f64_e32 v[2:3], v[6:7], v[2:3]
	v_add_f64_e32 v[4:5], v[8:9], v[4:5]
	global_store_b128 v[36:37], v[2:5], off
.LBB6_50:                               ;   in Loop: Header=BB6_3 Depth=1
	s_and_not1_b32 vcc_lo, exec_lo, s16
	s_cbranch_vccnz .LBB6_2
; %bb.51:                               ;   in Loop: Header=BB6_3 Depth=1
	s_wait_xcnt 0x0
	v_lshl_add_u64 v[36:37], v[10:11], 4, s[12:13]
	ds_load_b128 v[6:9], v12
	global_load_b128 v[2:5], v[36:37], off
	s_wait_loadcnt_dscnt 0x0
	v_add_f64_e32 v[2:3], v[6:7], v[2:3]
	v_add_f64_e32 v[4:5], v[8:9], v[4:5]
	global_store_b128 v[36:37], v[2:5], off
	s_branch .LBB6_2
.LBB6_52:
	s_endpgm
	.section	.rodata,"a",@progbits
	.p2align	6, 0x0
	.amdhsa_kernel _ZN9rocsparseL28coommnn_general_block_reduceILj1024E21rocsparse_complex_numIdEiS2_EEvT1_S3_PKS3_PKT0_PT2_ll16rocsparse_order_
		.amdhsa_group_segment_fixed_size 20480
		.amdhsa_private_segment_fixed_size 0
		.amdhsa_kernarg_size 52
		.amdhsa_user_sgpr_count 2
		.amdhsa_user_sgpr_dispatch_ptr 0
		.amdhsa_user_sgpr_queue_ptr 0
		.amdhsa_user_sgpr_kernarg_segment_ptr 1
		.amdhsa_user_sgpr_dispatch_id 0
		.amdhsa_user_sgpr_kernarg_preload_length 0
		.amdhsa_user_sgpr_kernarg_preload_offset 0
		.amdhsa_user_sgpr_private_segment_size 0
		.amdhsa_wavefront_size32 1
		.amdhsa_uses_dynamic_stack 0
		.amdhsa_enable_private_segment 0
		.amdhsa_system_sgpr_workgroup_id_x 1
		.amdhsa_system_sgpr_workgroup_id_y 0
		.amdhsa_system_sgpr_workgroup_id_z 1
		.amdhsa_system_sgpr_workgroup_info 0
		.amdhsa_system_vgpr_workitem_id 0
		.amdhsa_next_free_vgpr 40
		.amdhsa_next_free_sgpr 30
		.amdhsa_named_barrier_count 0
		.amdhsa_reserve_vcc 1
		.amdhsa_float_round_mode_32 0
		.amdhsa_float_round_mode_16_64 0
		.amdhsa_float_denorm_mode_32 3
		.amdhsa_float_denorm_mode_16_64 3
		.amdhsa_fp16_overflow 0
		.amdhsa_memory_ordered 1
		.amdhsa_forward_progress 1
		.amdhsa_inst_pref_size 17
		.amdhsa_round_robin_scheduling 0
		.amdhsa_exception_fp_ieee_invalid_op 0
		.amdhsa_exception_fp_denorm_src 0
		.amdhsa_exception_fp_ieee_div_zero 0
		.amdhsa_exception_fp_ieee_overflow 0
		.amdhsa_exception_fp_ieee_underflow 0
		.amdhsa_exception_fp_ieee_inexact 0
		.amdhsa_exception_int_div_zero 0
	.end_amdhsa_kernel
	.section	.text._ZN9rocsparseL28coommnn_general_block_reduceILj1024E21rocsparse_complex_numIdEiS2_EEvT1_S3_PKS3_PKT0_PT2_ll16rocsparse_order_,"axG",@progbits,_ZN9rocsparseL28coommnn_general_block_reduceILj1024E21rocsparse_complex_numIdEiS2_EEvT1_S3_PKS3_PKT0_PT2_ll16rocsparse_order_,comdat
.Lfunc_end6:
	.size	_ZN9rocsparseL28coommnn_general_block_reduceILj1024E21rocsparse_complex_numIdEiS2_EEvT1_S3_PKS3_PKT0_PT2_ll16rocsparse_order_, .Lfunc_end6-_ZN9rocsparseL28coommnn_general_block_reduceILj1024E21rocsparse_complex_numIdEiS2_EEvT1_S3_PKS3_PKT0_PT2_ll16rocsparse_order_
                                        ; -- End function
	.set _ZN9rocsparseL28coommnn_general_block_reduceILj1024E21rocsparse_complex_numIdEiS2_EEvT1_S3_PKS3_PKT0_PT2_ll16rocsparse_order_.num_vgpr, 40
	.set _ZN9rocsparseL28coommnn_general_block_reduceILj1024E21rocsparse_complex_numIdEiS2_EEvT1_S3_PKS3_PKT0_PT2_ll16rocsparse_order_.num_agpr, 0
	.set _ZN9rocsparseL28coommnn_general_block_reduceILj1024E21rocsparse_complex_numIdEiS2_EEvT1_S3_PKS3_PKT0_PT2_ll16rocsparse_order_.numbered_sgpr, 30
	.set _ZN9rocsparseL28coommnn_general_block_reduceILj1024E21rocsparse_complex_numIdEiS2_EEvT1_S3_PKS3_PKT0_PT2_ll16rocsparse_order_.num_named_barrier, 0
	.set _ZN9rocsparseL28coommnn_general_block_reduceILj1024E21rocsparse_complex_numIdEiS2_EEvT1_S3_PKS3_PKT0_PT2_ll16rocsparse_order_.private_seg_size, 0
	.set _ZN9rocsparseL28coommnn_general_block_reduceILj1024E21rocsparse_complex_numIdEiS2_EEvT1_S3_PKS3_PKT0_PT2_ll16rocsparse_order_.uses_vcc, 1
	.set _ZN9rocsparseL28coommnn_general_block_reduceILj1024E21rocsparse_complex_numIdEiS2_EEvT1_S3_PKS3_PKT0_PT2_ll16rocsparse_order_.uses_flat_scratch, 0
	.set _ZN9rocsparseL28coommnn_general_block_reduceILj1024E21rocsparse_complex_numIdEiS2_EEvT1_S3_PKS3_PKT0_PT2_ll16rocsparse_order_.has_dyn_sized_stack, 0
	.set _ZN9rocsparseL28coommnn_general_block_reduceILj1024E21rocsparse_complex_numIdEiS2_EEvT1_S3_PKS3_PKT0_PT2_ll16rocsparse_order_.has_recursion, 0
	.set _ZN9rocsparseL28coommnn_general_block_reduceILj1024E21rocsparse_complex_numIdEiS2_EEvT1_S3_PKS3_PKT0_PT2_ll16rocsparse_order_.has_indirect_call, 0
	.section	.AMDGPU.csdata,"",@progbits
; Kernel info:
; codeLenInByte = 2176
; TotalNumSgprs: 32
; NumVgprs: 40
; ScratchSize: 0
; MemoryBound: 0
; FloatMode: 240
; IeeeMode: 1
; LDSByteSize: 20480 bytes/workgroup (compile time only)
; SGPRBlocks: 0
; VGPRBlocks: 2
; NumSGPRsForWavesPerEU: 32
; NumVGPRsForWavesPerEU: 40
; NamedBarCnt: 0
; Occupancy: 16
; WaveLimiterHint : 0
; COMPUTE_PGM_RSRC2:SCRATCH_EN: 0
; COMPUTE_PGM_RSRC2:USER_SGPR: 2
; COMPUTE_PGM_RSRC2:TRAP_HANDLER: 0
; COMPUTE_PGM_RSRC2:TGID_X_EN: 1
; COMPUTE_PGM_RSRC2:TGID_Y_EN: 0
; COMPUTE_PGM_RSRC2:TGID_Z_EN: 1
; COMPUTE_PGM_RSRC2:TIDIG_COMP_CNT: 0
	.section	.text._ZN9rocsparseL28coommnn_general_block_reduceILj1024E21rocsparse_complex_numIdElS2_EEvT1_S3_PKS3_PKT0_PT2_ll16rocsparse_order_,"axG",@progbits,_ZN9rocsparseL28coommnn_general_block_reduceILj1024E21rocsparse_complex_numIdElS2_EEvT1_S3_PKS3_PKT0_PT2_ll16rocsparse_order_,comdat
	.globl	_ZN9rocsparseL28coommnn_general_block_reduceILj1024E21rocsparse_complex_numIdElS2_EEvT1_S3_PKS3_PKT0_PT2_ll16rocsparse_order_ ; -- Begin function _ZN9rocsparseL28coommnn_general_block_reduceILj1024E21rocsparse_complex_numIdElS2_EEvT1_S3_PKS3_PKT0_PT2_ll16rocsparse_order_
	.p2align	8
	.type	_ZN9rocsparseL28coommnn_general_block_reduceILj1024E21rocsparse_complex_numIdElS2_EEvT1_S3_PKS3_PKT0_PT2_ll16rocsparse_order_,@function
_ZN9rocsparseL28coommnn_general_block_reduceILj1024E21rocsparse_complex_numIdElS2_EEvT1_S3_PKS3_PKT0_PT2_ll16rocsparse_order_: ; @_ZN9rocsparseL28coommnn_general_block_reduceILj1024E21rocsparse_complex_numIdElS2_EEvT1_S3_PKS3_PKT0_PT2_ll16rocsparse_order_
; %bb.0:
	s_load_b128 s[12:15], s[0:1], 0x0
	s_wait_kmcnt 0x0
	v_cmp_lt_i64_e64 s2, s[14:15], 1
	s_and_b32 vcc_lo, exec_lo, s2
	s_cbranch_vccnz .LBB7_52
; %bb.1:
	s_bfe_u32 s2, ttmp6, 0x40014
	s_lshr_b32 s19, ttmp7, 16
	s_add_co_i32 s2, s2, 1
	s_clause 0x1
	s_load_b256 s[4:11], s[0:1], 0x10
	s_load_b96 s[16:18], s[0:1], 0x30
	s_wait_xcnt 0x0
	s_mul_i32 s0, s19, s2
	s_bfe_u32 s2, ttmp6, 0x4000c
	s_bfe_u32 s1, ttmp6, 0x40008
	s_add_co_i32 s2, s2, 1
	s_add_co_i32 s1, s1, s0
	s_and_b32 s0, ttmp6, 15
	s_mul_i32 s2, ttmp9, s2
	s_getreg_b32 s3, hwreg(HW_REG_IB_STS2, 6, 4)
	s_add_co_i32 s0, s0, s2
	s_cmp_eq_u32 s3, 0
	s_mov_b32 s3, 0
	s_cselect_b32 s2, ttmp9, s0
	s_cselect_b32 s30, s19, s1
	v_sub_co_u32 v3, s0, v0, 1
	v_sub_co_u32 v4, s1, v0, 2
	s_xor_b32 s19, s0, -1
	v_lshl_add_u32 v19, v3, 3, 0x4000
	s_xor_b32 s20, s1, -1
	v_lshl_add_u32 v21, v4, 3, 0x4000
	v_sub_co_u32 v3, s0, v0, 4
	v_sub_co_u32 v4, s1, v0, 8
	s_xor_b32 s21, s0, -1
	v_lshl_add_u32 v23, v3, 3, 0x4000
	s_xor_b32 s22, s1, -1
	v_lshl_add_u32 v25, v4, 3, 0x4000
	;; [unrolled: 6-line block ×3, first 2 shown]
	v_sub_co_u32 v3, s0, v0, 64
	v_subrev_co_u32 v4, s1, 0x80, v0
	s_xor_b32 s25, s0, -1
	v_lshl_add_u32 v31, v3, 3, 0x4000
	s_xor_b32 s26, s1, -1
	v_lshl_add_u32 v33, v4, 3, 0x4000
	v_subrev_co_u32 v3, s0, 0x100, v0
	v_subrev_co_u32 v4, s1, 0x200, v0
	s_mov_b32 s31, s3
	s_lshl_b64 s[34:35], s[2:3], 4
	s_xor_b32 s27, s0, -1
	s_xor_b32 s28, s1, -1
	v_dual_mov_b32 v1, 0 :: v_dual_lshlrev_b32 v2, 3, v0
	s_wait_kmcnt 0x0
	s_cmp_lg_u32 s18, 1
	s_mul_u64 s[0:1], s[12:13], s[30:31]
	s_cselect_b32 s12, -1, 0
	s_lshl_b64 s[38:39], s[0:1], 4
	s_add_nc_u64 s[36:37], s[8:9], s[34:35]
	s_add_nc_u64 s[34:35], s[38:39], s[34:35]
	v_dual_mov_b32 v11, v1 :: v_dual_lshlrev_b32 v10, 4, v0
	s_mul_u64 s[34:35], s[14:15], s[34:35]
	v_lshl_add_u32 v37, v4, 3, 0x4000
	s_add_nc_u64 s[6:7], s[6:7], s[34:35]
	s_mul_u64 s[16:17], s[16:17], s[30:31]
	v_add_nc_u64_e32 v[4:5], s[6:7], v[10:11]
	s_mul_u64 s[30:31], s[14:15], s[30:31]
	v_add_nc_u32_e32 v20, -16, v10
	v_lshl_add_u32 v35, v3, 3, 0x4000
	v_mov_b32_e32 v3, v1
	s_lshl_b64 s[6:7], s[30:31], 3
	s_mul_u64 s[2:3], s[10:11], s[2:3]
	s_add_nc_u64 s[4:5], s[4:5], s[6:7]
	v_add_nc_u64_e32 v[14:15], 8, v[4:5]
	v_add_nc_u64_e32 v[12:13], s[4:5], v[2:3]
	s_lshl_b64 s[2:3], s[2:3], 4
	v_or_b32_e32 v18, 0x4000, v2
	v_subrev_nc_u32_e32 v22, 32, v10
	v_subrev_nc_u32_e32 v24, 64, v10
	v_add_nc_u32_e32 v26, 0xffffff80, v10
	v_add_nc_u32_e32 v28, 0xffffff00, v10
	;; [unrolled: 1-line block ×7, first 2 shown]
	v_cmp_ne_u32_e64 s0, 0x3ff, v0
	s_lshl_b64 s[4:5], s[16:17], 4
	s_add_nc_u64 s[6:7], s[8:9], s[2:3]
	s_add_nc_u64 s[2:3], s[36:37], s[4:5]
	;; [unrolled: 1-line block ×3, first 2 shown]
	s_mov_b64 s[6:7], 0
	s_branch .LBB7_3
.LBB7_2:                                ;   in Loop: Header=BB7_3 Depth=1
	s_wait_xcnt 0x0
	s_or_b32 exec_lo, exec_lo, s1
	s_add_nc_u64 s[6:7], s[6:7], 0x400
	v_add_nc_u64_e32 v[12:13], 0x2000, v[12:13]
	v_cmp_ge_i64_e64 s1, s[6:7], s[14:15]
	v_add_nc_u64_e32 v[14:15], 0x4000, v[14:15]
	s_wait_storecnt 0x0
	s_barrier_signal -1
	s_barrier_wait -1
	s_and_b32 vcc_lo, exec_lo, s1
	s_cbranch_vccnz .LBB7_52
.LBB7_3:                                ; =>This Inner Loop Header: Depth=1
	v_add_nc_u64_e32 v[2:3], s[6:7], v[0:1]
	v_mov_b64_e32 v[4:5], 0
	v_mov_b64_e32 v[16:17], -1
	v_mov_b64_e32 v[8:9], 0
	v_mov_b64_e32 v[6:7], 0
	s_mov_b32 s1, exec_lo
	v_cmpx_gt_i64_e64 s[14:15], v[2:3]
	s_cbranch_execz .LBB7_5
; %bb.4:                                ;   in Loop: Header=BB7_3 Depth=1
	global_load_b64 v[16:17], v[12:13], off
	global_load_b128 v[6:9], v[14:15], off offset:-8
.LBB7_5:                                ;   in Loop: Header=BB7_3 Depth=1
	s_wait_xcnt 0x0
	s_or_b32 exec_lo, exec_lo, s1
	v_mov_b64_e32 v[2:3], 0
	s_wait_loadcnt 0x1
	ds_store_b64 v18, v[16:17]
	s_wait_loadcnt 0x0
	ds_store_b128 v10, v[6:9]
	s_wait_dscnt 0x0
	s_barrier_signal -1
	s_barrier_wait -1
	s_and_saveexec_b32 s1, s19
	s_cbranch_execz .LBB7_9
; %bb.6:                                ;   in Loop: Header=BB7_3 Depth=1
	ds_load_2addr_b64 v[4:7], v19 offset1:1
	v_mov_b64_e32 v[2:3], 0
	s_wait_dscnt 0x0
	v_cmp_eq_u64_e32 vcc_lo, v[6:7], v[4:5]
	v_mov_b64_e32 v[4:5], 0
	s_and_saveexec_b32 s8, vcc_lo
; %bb.7:                                ;   in Loop: Header=BB7_3 Depth=1
	ds_load_b128 v[2:5], v20
; %bb.8:                                ;   in Loop: Header=BB7_3 Depth=1
	s_or_b32 exec_lo, exec_lo, s8
.LBB7_9:                                ;   in Loop: Header=BB7_3 Depth=1
	s_delay_alu instid0(SALU_CYCLE_1)
	s_or_b32 exec_lo, exec_lo, s1
	s_wait_dscnt 0x0
	s_barrier_signal -1
	s_barrier_wait -1
	ds_load_b128 v[6:9], v10
	s_wait_dscnt 0x0
	v_add_f64_e32 v[40:41], v[2:3], v[6:7]
	v_add_f64_e32 v[42:43], v[4:5], v[8:9]
	v_mov_b64_e32 v[4:5], 0
	v_mov_b64_e32 v[8:9], 0
	v_mov_b64_e32 v[6:7], 0
	ds_store_b128 v10, v[40:43]
	s_wait_dscnt 0x0
	s_barrier_signal -1
	s_barrier_wait -1
	s_and_saveexec_b32 s1, s20
	s_cbranch_execz .LBB7_13
; %bb.10:                               ;   in Loop: Header=BB7_3 Depth=1
	ds_load_b64 v[2:3], v18
	ds_load_b64 v[8:9], v21
	v_mov_b64_e32 v[6:7], 0
	s_wait_dscnt 0x0
	v_cmp_eq_u64_e32 vcc_lo, v[2:3], v[8:9]
	v_mov_b64_e32 v[8:9], 0
	s_and_saveexec_b32 s8, vcc_lo
; %bb.11:                               ;   in Loop: Header=BB7_3 Depth=1
	ds_load_b128 v[6:9], v22
; %bb.12:                               ;   in Loop: Header=BB7_3 Depth=1
	s_or_b32 exec_lo, exec_lo, s8
.LBB7_13:                               ;   in Loop: Header=BB7_3 Depth=1
	s_delay_alu instid0(SALU_CYCLE_1)
	s_or_b32 exec_lo, exec_lo, s1
	s_wait_dscnt 0x0
	s_barrier_signal -1
	s_barrier_wait -1
	ds_load_b128 v[40:43], v10
	v_mov_b64_e32 v[2:3], 0
	s_wait_dscnt 0x0
	v_add_f64_e32 v[6:7], v[6:7], v[40:41]
	v_add_f64_e32 v[8:9], v[8:9], v[42:43]
	ds_store_b128 v10, v[6:9]
	s_wait_dscnt 0x0
	s_barrier_signal -1
	s_barrier_wait -1
	s_and_saveexec_b32 s1, s21
	s_cbranch_execz .LBB7_17
; %bb.14:                               ;   in Loop: Header=BB7_3 Depth=1
	ds_load_b64 v[4:5], v18
	ds_load_b64 v[6:7], v23
	v_mov_b64_e32 v[2:3], 0
	s_wait_dscnt 0x0
	v_cmp_eq_u64_e32 vcc_lo, v[4:5], v[6:7]
	v_mov_b64_e32 v[4:5], 0
	s_and_saveexec_b32 s8, vcc_lo
; %bb.15:                               ;   in Loop: Header=BB7_3 Depth=1
	ds_load_b128 v[2:5], v24
; %bb.16:                               ;   in Loop: Header=BB7_3 Depth=1
	s_or_b32 exec_lo, exec_lo, s8
.LBB7_17:                               ;   in Loop: Header=BB7_3 Depth=1
	s_delay_alu instid0(SALU_CYCLE_1)
	s_or_b32 exec_lo, exec_lo, s1
	s_wait_dscnt 0x0
	s_barrier_signal -1
	s_barrier_wait -1
	ds_load_b128 v[6:9], v10
	s_wait_dscnt 0x0
	v_add_f64_e32 v[40:41], v[2:3], v[6:7]
	v_add_f64_e32 v[42:43], v[4:5], v[8:9]
	v_mov_b64_e32 v[4:5], 0
	v_mov_b64_e32 v[8:9], 0
	v_mov_b64_e32 v[6:7], 0
	ds_store_b128 v10, v[40:43]
	s_wait_dscnt 0x0
	s_barrier_signal -1
	s_barrier_wait -1
	s_and_saveexec_b32 s1, s22
	s_cbranch_execz .LBB7_21
; %bb.18:                               ;   in Loop: Header=BB7_3 Depth=1
	ds_load_b64 v[2:3], v18
	ds_load_b64 v[8:9], v25
	v_mov_b64_e32 v[6:7], 0
	s_wait_dscnt 0x0
	v_cmp_eq_u64_e32 vcc_lo, v[2:3], v[8:9]
	v_mov_b64_e32 v[8:9], 0
	s_and_saveexec_b32 s8, vcc_lo
; %bb.19:                               ;   in Loop: Header=BB7_3 Depth=1
	ds_load_b128 v[6:9], v26
; %bb.20:                               ;   in Loop: Header=BB7_3 Depth=1
	s_or_b32 exec_lo, exec_lo, s8
.LBB7_21:                               ;   in Loop: Header=BB7_3 Depth=1
	s_delay_alu instid0(SALU_CYCLE_1)
	s_or_b32 exec_lo, exec_lo, s1
	s_wait_dscnt 0x0
	s_barrier_signal -1
	s_barrier_wait -1
	ds_load_b128 v[40:43], v10
	v_mov_b64_e32 v[2:3], 0
	s_wait_dscnt 0x0
	v_add_f64_e32 v[6:7], v[6:7], v[40:41]
	v_add_f64_e32 v[8:9], v[8:9], v[42:43]
	ds_store_b128 v10, v[6:9]
	s_wait_dscnt 0x0
	s_barrier_signal -1
	s_barrier_wait -1
	s_and_saveexec_b32 s1, s23
	s_cbranch_execz .LBB7_25
; %bb.22:                               ;   in Loop: Header=BB7_3 Depth=1
	ds_load_b64 v[4:5], v18
	ds_load_b64 v[6:7], v27
	v_mov_b64_e32 v[2:3], 0
	s_wait_dscnt 0x0
	v_cmp_eq_u64_e32 vcc_lo, v[4:5], v[6:7]
	v_mov_b64_e32 v[4:5], 0
	s_and_saveexec_b32 s8, vcc_lo
; %bb.23:                               ;   in Loop: Header=BB7_3 Depth=1
	ds_load_b128 v[2:5], v28
; %bb.24:                               ;   in Loop: Header=BB7_3 Depth=1
	s_or_b32 exec_lo, exec_lo, s8
.LBB7_25:                               ;   in Loop: Header=BB7_3 Depth=1
	;; [unrolled: 60-line block ×4, first 2 shown]
	s_delay_alu instid0(SALU_CYCLE_1)
	s_or_b32 exec_lo, exec_lo, s1
	s_wait_dscnt 0x0
	s_barrier_signal -1
	s_barrier_wait -1
	ds_load_b128 v[6:9], v10
	s_wait_dscnt 0x0
	v_add_f64_e32 v[6:7], v[2:3], v[6:7]
	v_add_f64_e32 v[8:9], v[4:5], v[8:9]
	v_mov_b64_e32 v[4:5], 0
	v_mov_b64_e32 v[2:3], 0
	ds_store_b128 v10, v[6:9]
	s_wait_dscnt 0x0
	s_barrier_signal -1
	s_barrier_wait -1
	s_and_saveexec_b32 s1, s28
	s_cbranch_execz .LBB7_45
; %bb.42:                               ;   in Loop: Header=BB7_3 Depth=1
	ds_load_b64 v[4:5], v18
	ds_load_b64 v[6:7], v37
	v_mov_b64_e32 v[2:3], 0
	s_wait_dscnt 0x0
	v_cmp_eq_u64_e32 vcc_lo, v[4:5], v[6:7]
	v_mov_b64_e32 v[4:5], 0
	s_and_saveexec_b32 s8, vcc_lo
; %bb.43:                               ;   in Loop: Header=BB7_3 Depth=1
	ds_load_b128 v[2:5], v38
; %bb.44:                               ;   in Loop: Header=BB7_3 Depth=1
	s_or_b32 exec_lo, exec_lo, s8
.LBB7_45:                               ;   in Loop: Header=BB7_3 Depth=1
	s_delay_alu instid0(SALU_CYCLE_1)
	s_or_b32 exec_lo, exec_lo, s1
	s_wait_dscnt 0x0
	s_barrier_signal -1
	s_barrier_wait -1
	ds_load_b128 v[6:9], v10
	s_wait_dscnt 0x0
	v_add_f64_e32 v[2:3], v[2:3], v[6:7]
	v_add_f64_e32 v[4:5], v[4:5], v[8:9]
	ds_store_b128 v10, v[2:5]
	s_wait_dscnt 0x0
	s_barrier_signal -1
	s_barrier_wait -1
	ds_load_b64 v[2:3], v18
	v_mov_b64_e32 v[4:5], -1
	s_and_saveexec_b32 s1, s0
; %bb.46:                               ;   in Loop: Header=BB7_3 Depth=1
	ds_load_b64 v[4:5], v18 offset:8
; %bb.47:                               ;   in Loop: Header=BB7_3 Depth=1
	s_or_b32 exec_lo, exec_lo, s1
	s_wait_dscnt 0x0
	v_cmp_ne_u64_e32 vcc_lo, v[2:3], v[4:5]
	v_cmp_lt_i64_e64 s1, -1, v[2:3]
	s_and_b32 s8, s1, vcc_lo
	s_delay_alu instid0(SALU_CYCLE_1)
	s_and_saveexec_b32 s1, s8
	s_cbranch_execz .LBB7_2
; %bb.48:                               ;   in Loop: Header=BB7_3 Depth=1
	s_and_b32 vcc_lo, exec_lo, s12
	s_mov_b32 s8, -1
	s_cbranch_vccz .LBB7_50
; %bb.49:                               ;   in Loop: Header=BB7_3 Depth=1
	v_mul_u64_e32 v[4:5], s[10:11], v[2:3]
	ds_load_b128 v[40:43], v10
	s_mov_b32 s8, 0
	v_lshl_add_u64 v[8:9], v[4:5], 4, s[2:3]
	global_load_b128 v[4:7], v[8:9], off
	s_wait_loadcnt_dscnt 0x0
	v_add_f64_e32 v[4:5], v[40:41], v[4:5]
	v_add_f64_e32 v[6:7], v[42:43], v[6:7]
	global_store_b128 v[8:9], v[4:7], off
.LBB7_50:                               ;   in Loop: Header=BB7_3 Depth=1
	s_and_not1_b32 vcc_lo, exec_lo, s8
	s_cbranch_vccnz .LBB7_2
; %bb.51:                               ;   in Loop: Header=BB7_3 Depth=1
	v_lshl_add_u64 v[16:17], v[2:3], 4, s[4:5]
	s_wait_xcnt 0x0
	ds_load_b128 v[6:9], v10
	global_load_b128 v[2:5], v[16:17], off
	s_wait_loadcnt_dscnt 0x0
	v_add_f64_e32 v[2:3], v[6:7], v[2:3]
	v_add_f64_e32 v[4:5], v[8:9], v[4:5]
	global_store_b128 v[16:17], v[2:5], off
	s_branch .LBB7_2
.LBB7_52:
	s_endpgm
	.section	.rodata,"a",@progbits
	.p2align	6, 0x0
	.amdhsa_kernel _ZN9rocsparseL28coommnn_general_block_reduceILj1024E21rocsparse_complex_numIdElS2_EEvT1_S3_PKS3_PKT0_PT2_ll16rocsparse_order_
		.amdhsa_group_segment_fixed_size 24576
		.amdhsa_private_segment_fixed_size 0
		.amdhsa_kernarg_size 60
		.amdhsa_user_sgpr_count 2
		.amdhsa_user_sgpr_dispatch_ptr 0
		.amdhsa_user_sgpr_queue_ptr 0
		.amdhsa_user_sgpr_kernarg_segment_ptr 1
		.amdhsa_user_sgpr_dispatch_id 0
		.amdhsa_user_sgpr_kernarg_preload_length 0
		.amdhsa_user_sgpr_kernarg_preload_offset 0
		.amdhsa_user_sgpr_private_segment_size 0
		.amdhsa_wavefront_size32 1
		.amdhsa_uses_dynamic_stack 0
		.amdhsa_enable_private_segment 0
		.amdhsa_system_sgpr_workgroup_id_x 1
		.amdhsa_system_sgpr_workgroup_id_y 0
		.amdhsa_system_sgpr_workgroup_id_z 1
		.amdhsa_system_sgpr_workgroup_info 0
		.amdhsa_system_vgpr_workitem_id 0
		.amdhsa_next_free_vgpr 44
		.amdhsa_next_free_sgpr 40
		.amdhsa_named_barrier_count 0
		.amdhsa_reserve_vcc 1
		.amdhsa_float_round_mode_32 0
		.amdhsa_float_round_mode_16_64 0
		.amdhsa_float_denorm_mode_32 3
		.amdhsa_float_denorm_mode_16_64 3
		.amdhsa_fp16_overflow 0
		.amdhsa_memory_ordered 1
		.amdhsa_forward_progress 1
		.amdhsa_inst_pref_size 18
		.amdhsa_round_robin_scheduling 0
		.amdhsa_exception_fp_ieee_invalid_op 0
		.amdhsa_exception_fp_denorm_src 0
		.amdhsa_exception_fp_ieee_div_zero 0
		.amdhsa_exception_fp_ieee_overflow 0
		.amdhsa_exception_fp_ieee_underflow 0
		.amdhsa_exception_fp_ieee_inexact 0
		.amdhsa_exception_int_div_zero 0
	.end_amdhsa_kernel
	.section	.text._ZN9rocsparseL28coommnn_general_block_reduceILj1024E21rocsparse_complex_numIdElS2_EEvT1_S3_PKS3_PKT0_PT2_ll16rocsparse_order_,"axG",@progbits,_ZN9rocsparseL28coommnn_general_block_reduceILj1024E21rocsparse_complex_numIdElS2_EEvT1_S3_PKS3_PKT0_PT2_ll16rocsparse_order_,comdat
.Lfunc_end7:
	.size	_ZN9rocsparseL28coommnn_general_block_reduceILj1024E21rocsparse_complex_numIdElS2_EEvT1_S3_PKS3_PKT0_PT2_ll16rocsparse_order_, .Lfunc_end7-_ZN9rocsparseL28coommnn_general_block_reduceILj1024E21rocsparse_complex_numIdElS2_EEvT1_S3_PKS3_PKT0_PT2_ll16rocsparse_order_
                                        ; -- End function
	.set _ZN9rocsparseL28coommnn_general_block_reduceILj1024E21rocsparse_complex_numIdElS2_EEvT1_S3_PKS3_PKT0_PT2_ll16rocsparse_order_.num_vgpr, 44
	.set _ZN9rocsparseL28coommnn_general_block_reduceILj1024E21rocsparse_complex_numIdElS2_EEvT1_S3_PKS3_PKT0_PT2_ll16rocsparse_order_.num_agpr, 0
	.set _ZN9rocsparseL28coommnn_general_block_reduceILj1024E21rocsparse_complex_numIdElS2_EEvT1_S3_PKS3_PKT0_PT2_ll16rocsparse_order_.numbered_sgpr, 40
	.set _ZN9rocsparseL28coommnn_general_block_reduceILj1024E21rocsparse_complex_numIdElS2_EEvT1_S3_PKS3_PKT0_PT2_ll16rocsparse_order_.num_named_barrier, 0
	.set _ZN9rocsparseL28coommnn_general_block_reduceILj1024E21rocsparse_complex_numIdElS2_EEvT1_S3_PKS3_PKT0_PT2_ll16rocsparse_order_.private_seg_size, 0
	.set _ZN9rocsparseL28coommnn_general_block_reduceILj1024E21rocsparse_complex_numIdElS2_EEvT1_S3_PKS3_PKT0_PT2_ll16rocsparse_order_.uses_vcc, 1
	.set _ZN9rocsparseL28coommnn_general_block_reduceILj1024E21rocsparse_complex_numIdElS2_EEvT1_S3_PKS3_PKT0_PT2_ll16rocsparse_order_.uses_flat_scratch, 0
	.set _ZN9rocsparseL28coommnn_general_block_reduceILj1024E21rocsparse_complex_numIdElS2_EEvT1_S3_PKS3_PKT0_PT2_ll16rocsparse_order_.has_dyn_sized_stack, 0
	.set _ZN9rocsparseL28coommnn_general_block_reduceILj1024E21rocsparse_complex_numIdElS2_EEvT1_S3_PKS3_PKT0_PT2_ll16rocsparse_order_.has_recursion, 0
	.set _ZN9rocsparseL28coommnn_general_block_reduceILj1024E21rocsparse_complex_numIdElS2_EEvT1_S3_PKS3_PKT0_PT2_ll16rocsparse_order_.has_indirect_call, 0
	.section	.AMDGPU.csdata,"",@progbits
; Kernel info:
; codeLenInByte = 2188
; TotalNumSgprs: 42
; NumVgprs: 44
; ScratchSize: 0
; MemoryBound: 1
; FloatMode: 240
; IeeeMode: 1
; LDSByteSize: 24576 bytes/workgroup (compile time only)
; SGPRBlocks: 0
; VGPRBlocks: 2
; NumSGPRsForWavesPerEU: 42
; NumVGPRsForWavesPerEU: 44
; NamedBarCnt: 0
; Occupancy: 16
; WaveLimiterHint : 0
; COMPUTE_PGM_RSRC2:SCRATCH_EN: 0
; COMPUTE_PGM_RSRC2:USER_SGPR: 2
; COMPUTE_PGM_RSRC2:TRAP_HANDLER: 0
; COMPUTE_PGM_RSRC2:TGID_X_EN: 1
; COMPUTE_PGM_RSRC2:TGID_Y_EN: 0
; COMPUTE_PGM_RSRC2:TGID_Z_EN: 1
; COMPUTE_PGM_RSRC2:TIDIG_COMP_CNT: 0
	.section	.text._ZN9rocsparseL28coommnn_general_block_reduceILj1024EiiiEEvT1_S1_PKS1_PKT0_PT2_ll16rocsparse_order_,"axG",@progbits,_ZN9rocsparseL28coommnn_general_block_reduceILj1024EiiiEEvT1_S1_PKS1_PKT0_PT2_ll16rocsparse_order_,comdat
	.globl	_ZN9rocsparseL28coommnn_general_block_reduceILj1024EiiiEEvT1_S1_PKS1_PKT0_PT2_ll16rocsparse_order_ ; -- Begin function _ZN9rocsparseL28coommnn_general_block_reduceILj1024EiiiEEvT1_S1_PKS1_PKT0_PT2_ll16rocsparse_order_
	.p2align	8
	.type	_ZN9rocsparseL28coommnn_general_block_reduceILj1024EiiiEEvT1_S1_PKS1_PKT0_PT2_ll16rocsparse_order_,@function
_ZN9rocsparseL28coommnn_general_block_reduceILj1024EiiiEEvT1_S1_PKS1_PKT0_PT2_ll16rocsparse_order_: ; @_ZN9rocsparseL28coommnn_general_block_reduceILj1024EiiiEEvT1_S1_PKS1_PKT0_PT2_ll16rocsparse_order_
; %bb.0:
	s_load_b64 s[2:3], s[0:1], 0x0
	s_wait_kmcnt 0x0
	s_cmp_lt_i32 s3, 1
	s_cbranch_scc1 .LBB8_52
; %bb.1:
	s_bfe_u32 s12, ttmp6, 0x4000c
	s_bfe_u32 s14, ttmp6, 0x40014
	s_add_co_i32 s12, s12, 1
	s_and_b32 s13, ttmp6, 15
	s_mul_i32 s12, ttmp9, s12
	s_lshr_b32 s15, ttmp7, 16
	s_add_co_i32 s14, s14, 1
	s_add_co_i32 s17, s13, s12
	s_mul_i32 s12, s15, s14
	s_bfe_u32 s13, ttmp6, 0x40008
	s_getreg_b32 s14, hwreg(HW_REG_IB_STS2, 6, 4)
	s_add_co_i32 s16, s13, s12
	s_cmp_eq_u32 s14, 0
	s_load_b256 s[4:11], s[0:1], 0x8
	s_cselect_b32 s16, s15, s16
	s_load_b96 s[12:14], s[0:1], 0x28
	s_wait_xcnt 0x0
	s_mul_i32 s0, s2, s16
	s_cselect_b32 s26, ttmp9, s17
	v_mad_u32 v25, s3, s16, v0
	s_add_co_i32 s1, s0, s26
	v_sub_co_u32 v2, s0, v0, 1
	s_xor_b32 s2, s0, -1
	v_sub_co_u32 v3, s0, v0, 2
	v_lshl_add_u32 v6, v2, 2, 0x1000
	s_xor_b32 s15, s0, -1
	v_sub_co_u32 v2, s0, v0, 4
	s_delay_alu instid0(VALU_DEP_3) | instskip(SKIP_2) | instid1(VALU_DEP_3)
	v_lshl_add_u32 v8, v3, 2, 0x1000
	s_xor_b32 s18, s0, -1
	v_sub_co_u32 v3, s0, v0, 8
	v_lshl_add_u32 v10, v2, 2, 0x1000
	s_xor_b32 s19, s0, -1
	v_sub_co_u32 v2, s0, v0, 16
	s_delay_alu instid0(VALU_DEP_3) | instskip(SKIP_2) | instid1(VALU_DEP_3)
	v_lshl_add_u32 v12, v3, 2, 0x1000
	;; [unrolled: 7-line block ×3, first 2 shown]
	s_xor_b32 s22, s0, -1
	v_subrev_co_u32 v3, s0, 0x80, v0
	v_lshl_add_u32 v18, v2, 2, 0x1000
	s_xor_b32 s23, s0, -1
	v_subrev_co_u32 v2, s0, 0x100, v0
	s_delay_alu instid0(VALU_DEP_3)
	v_lshl_add_u32 v20, v3, 2, 0x1000
	s_xor_b32 s24, s0, -1
	v_subrev_co_u32 v3, s0, 0x200, v0
	s_xor_b32 s25, s0, -1
	s_wait_kmcnt 0x0
	s_cmp_lg_u32 s14, 1
	v_mad_u32 v26, s1, s3, v0
	v_lshlrev_b32_e32 v1, 2, v0
	s_cselect_b32 s14, -1, 0
	s_ashr_i32 s27, s26, 31
	s_mov_b32 s17, 0
	s_lshl_b64 s[28:29], s[26:27], 2
	s_mul_u64 s[26:27], s[10:11], s[26:27]
	s_mul_u64 s[12:13], s[12:13], s[16:17]
	s_lshl_b64 s[26:27], s[26:27], 2
	v_lshl_add_u32 v22, v2, 2, 0x1000
	v_lshl_add_u32 v24, v3, 2, 0x1000
	v_cmp_ne_u32_e64 s0, 0x3ff, v0
	v_mov_b32_e32 v3, 0
	v_or_b32_e32 v4, 0x1000, v1
	v_dual_add_nc_u32 v5, -4, v1 :: v_dual_add_nc_u32 v7, -8, v1
	v_add_nc_u32_e32 v9, -16, v1
	v_subrev_nc_u32_e32 v11, 32, v1
	v_subrev_nc_u32_e32 v13, 64, v1
	v_add_nc_u32_e32 v15, 0xffffff80, v1
	v_add_nc_u32_e32 v17, 0xffffff00, v1
	;; [unrolled: 1-line block ×5, first 2 shown]
	s_add_nc_u64 s[28:29], s[8:9], s[28:29]
	s_lshl_b64 s[12:13], s[12:13], 2
	s_add_nc_u64 s[26:27], s[8:9], s[26:27]
	s_add_nc_u64 s[8:9], s[28:29], s[12:13]
	;; [unrolled: 1-line block ×3, first 2 shown]
	s_branch .LBB8_3
.LBB8_2:                                ;   in Loop: Header=BB8_3 Depth=1
	s_wait_xcnt 0x0
	s_or_b32 exec_lo, exec_lo, s1
	s_addk_co_i32 s17, 0x400
	s_wait_storecnt_dscnt 0x0
	s_cmp_ge_i32 s17, s3
	s_barrier_signal -1
	s_barrier_wait -1
	s_cbranch_scc1 .LBB8_52
.LBB8_3:                                ; =>This Inner Loop Header: Depth=1
	v_dual_mov_b32 v2, -1 :: v_dual_add_nc_u32 v27, s17, v0
	s_delay_alu instid0(VALU_DEP_1)
	v_cmp_gt_i32_e32 vcc_lo, s3, v27
	v_mov_b32_e32 v27, 0
	s_and_saveexec_b32 s1, vcc_lo
	s_cbranch_execz .LBB8_5
; %bb.4:                                ;   in Loop: Header=BB8_3 Depth=1
	v_dual_add_nc_u32 v28, s17, v25 :: v_dual_add_nc_u32 v29, s17, v26
	global_load_b32 v2, v28, s[4:5] scale_offset
	global_load_b32 v27, v29, s[6:7] scale_offset
.LBB8_5:                                ;   in Loop: Header=BB8_3 Depth=1
	s_wait_xcnt 0x0
	s_or_b32 exec_lo, exec_lo, s1
	s_wait_loadcnt 0x1
	ds_store_b32 v1, v2
	s_wait_loadcnt 0x0
	ds_store_b32 v4, v27
	v_dual_mov_b32 v2, 0 :: v_dual_mov_b32 v27, 0
	s_wait_dscnt 0x0
	s_barrier_signal -1
	s_barrier_wait -1
	s_and_saveexec_b32 s1, s2
	s_cbranch_execz .LBB8_9
; %bb.6:                                ;   in Loop: Header=BB8_3 Depth=1
	ds_load_2addr_b32 v[28:29], v5 offset1:1
	v_mov_b32_e32 v27, 0
	s_mov_b32 s16, exec_lo
	s_wait_dscnt 0x0
	v_cmpx_eq_u32_e64 v29, v28
; %bb.7:                                ;   in Loop: Header=BB8_3 Depth=1
	ds_load_b32 v27, v6
; %bb.8:                                ;   in Loop: Header=BB8_3 Depth=1
	s_or_b32 exec_lo, exec_lo, s16
.LBB8_9:                                ;   in Loop: Header=BB8_3 Depth=1
	s_delay_alu instid0(SALU_CYCLE_1)
	s_or_b32 exec_lo, exec_lo, s1
	s_wait_dscnt 0x0
	s_barrier_signal -1
	s_barrier_wait -1
	ds_load_b32 v28, v4
	s_wait_dscnt 0x0
	v_add_nc_u32_e32 v27, v28, v27
	ds_store_b32 v4, v27
	s_wait_dscnt 0x0
	s_barrier_signal -1
	s_barrier_wait -1
	s_and_saveexec_b32 s1, s15
	s_cbranch_execz .LBB8_13
; %bb.10:                               ;   in Loop: Header=BB8_3 Depth=1
	ds_load_b32 v2, v1
	ds_load_b32 v27, v7
	s_wait_dscnt 0x0
	v_cmp_eq_u32_e32 vcc_lo, v2, v27
	v_mov_b32_e32 v2, 0
	s_and_saveexec_b32 s16, vcc_lo
; %bb.11:                               ;   in Loop: Header=BB8_3 Depth=1
	ds_load_b32 v2, v8
; %bb.12:                               ;   in Loop: Header=BB8_3 Depth=1
	s_or_b32 exec_lo, exec_lo, s16
.LBB8_13:                               ;   in Loop: Header=BB8_3 Depth=1
	s_delay_alu instid0(SALU_CYCLE_1)
	s_or_b32 exec_lo, exec_lo, s1
	s_wait_dscnt 0x0
	s_barrier_signal -1
	s_barrier_wait -1
	ds_load_b32 v27, v4
	s_wait_dscnt 0x0
	v_dual_add_nc_u32 v28, v27, v2 :: v_dual_mov_b32 v2, 0
	v_mov_b32_e32 v27, 0
	ds_store_b32 v4, v28
	s_wait_dscnt 0x0
	s_barrier_signal -1
	s_barrier_wait -1
	s_and_saveexec_b32 s1, s18
	s_cbranch_execz .LBB8_17
; %bb.14:                               ;   in Loop: Header=BB8_3 Depth=1
	ds_load_b32 v27, v1
	ds_load_b32 v28, v9
	s_wait_dscnt 0x0
	v_cmp_eq_u32_e32 vcc_lo, v27, v28
	v_mov_b32_e32 v27, 0
	s_and_saveexec_b32 s16, vcc_lo
; %bb.15:                               ;   in Loop: Header=BB8_3 Depth=1
	ds_load_b32 v27, v10
; %bb.16:                               ;   in Loop: Header=BB8_3 Depth=1
	s_or_b32 exec_lo, exec_lo, s16
.LBB8_17:                               ;   in Loop: Header=BB8_3 Depth=1
	s_delay_alu instid0(SALU_CYCLE_1)
	s_or_b32 exec_lo, exec_lo, s1
	s_wait_dscnt 0x0
	s_barrier_signal -1
	s_barrier_wait -1
	ds_load_b32 v28, v4
	s_wait_dscnt 0x0
	v_add_nc_u32_e32 v27, v28, v27
	ds_store_b32 v4, v27
	s_wait_dscnt 0x0
	s_barrier_signal -1
	s_barrier_wait -1
	s_and_saveexec_b32 s1, s19
	s_cbranch_execz .LBB8_21
; %bb.18:                               ;   in Loop: Header=BB8_3 Depth=1
	ds_load_b32 v2, v1
	ds_load_b32 v27, v11
	s_wait_dscnt 0x0
	v_cmp_eq_u32_e32 vcc_lo, v2, v27
	v_mov_b32_e32 v2, 0
	s_and_saveexec_b32 s16, vcc_lo
; %bb.19:                               ;   in Loop: Header=BB8_3 Depth=1
	ds_load_b32 v2, v12
; %bb.20:                               ;   in Loop: Header=BB8_3 Depth=1
	s_or_b32 exec_lo, exec_lo, s16
.LBB8_21:                               ;   in Loop: Header=BB8_3 Depth=1
	s_delay_alu instid0(SALU_CYCLE_1)
	s_or_b32 exec_lo, exec_lo, s1
	s_wait_dscnt 0x0
	s_barrier_signal -1
	s_barrier_wait -1
	ds_load_b32 v27, v4
	s_wait_dscnt 0x0
	v_dual_add_nc_u32 v28, v27, v2 :: v_dual_mov_b32 v2, 0
	v_mov_b32_e32 v27, 0
	ds_store_b32 v4, v28
	s_wait_dscnt 0x0
	s_barrier_signal -1
	s_barrier_wait -1
	s_and_saveexec_b32 s1, s20
	s_cbranch_execz .LBB8_25
; %bb.22:                               ;   in Loop: Header=BB8_3 Depth=1
	ds_load_b32 v27, v1
	ds_load_b32 v28, v13
	s_wait_dscnt 0x0
	v_cmp_eq_u32_e32 vcc_lo, v27, v28
	v_mov_b32_e32 v27, 0
	s_and_saveexec_b32 s16, vcc_lo
; %bb.23:                               ;   in Loop: Header=BB8_3 Depth=1
	ds_load_b32 v27, v14
; %bb.24:                               ;   in Loop: Header=BB8_3 Depth=1
	s_or_b32 exec_lo, exec_lo, s16
.LBB8_25:                               ;   in Loop: Header=BB8_3 Depth=1
	;; [unrolled: 53-line block ×4, first 2 shown]
	s_delay_alu instid0(SALU_CYCLE_1)
	s_or_b32 exec_lo, exec_lo, s1
	s_wait_dscnt 0x0
	s_barrier_signal -1
	s_barrier_wait -1
	ds_load_b32 v28, v4
	s_wait_dscnt 0x0
	v_add_nc_u32_e32 v27, v28, v27
	ds_store_b32 v4, v27
	s_wait_dscnt 0x0
	s_barrier_signal -1
	s_barrier_wait -1
	s_and_saveexec_b32 s1, s25
	s_cbranch_execz .LBB8_45
; %bb.42:                               ;   in Loop: Header=BB8_3 Depth=1
	ds_load_b32 v2, v1
	ds_load_b32 v27, v23
	s_wait_dscnt 0x0
	v_cmp_eq_u32_e32 vcc_lo, v2, v27
	v_mov_b32_e32 v2, 0
	s_and_saveexec_b32 s16, vcc_lo
; %bb.43:                               ;   in Loop: Header=BB8_3 Depth=1
	ds_load_b32 v2, v24
; %bb.44:                               ;   in Loop: Header=BB8_3 Depth=1
	s_or_b32 exec_lo, exec_lo, s16
.LBB8_45:                               ;   in Loop: Header=BB8_3 Depth=1
	s_delay_alu instid0(SALU_CYCLE_1)
	s_or_b32 exec_lo, exec_lo, s1
	s_wait_dscnt 0x0
	s_barrier_signal -1
	s_barrier_wait -1
	ds_load_b32 v27, v4
	s_wait_dscnt 0x0
	v_dual_mov_b32 v27, -1 :: v_dual_add_nc_u32 v2, v27, v2
	ds_store_b32 v4, v2
	s_wait_dscnt 0x0
	s_barrier_signal -1
	s_barrier_wait -1
	ds_load_b32 v2, v1
	s_and_saveexec_b32 s1, s0
; %bb.46:                               ;   in Loop: Header=BB8_3 Depth=1
	ds_load_b32 v27, v1 offset:4
; %bb.47:                               ;   in Loop: Header=BB8_3 Depth=1
	s_or_b32 exec_lo, exec_lo, s1
	s_wait_dscnt 0x0
	v_cmp_ne_u32_e32 vcc_lo, v2, v27
	v_cmp_lt_i32_e64 s1, -1, v2
	s_and_b32 s16, s1, vcc_lo
	s_delay_alu instid0(SALU_CYCLE_1)
	s_and_saveexec_b32 s1, s16
	s_cbranch_execz .LBB8_2
; %bb.48:                               ;   in Loop: Header=BB8_3 Depth=1
	ds_load_b32 v27, v4
	s_and_b32 vcc_lo, exec_lo, s14
	s_mov_b32 s16, -1
	s_cbranch_vccz .LBB8_50
; %bb.49:                               ;   in Loop: Header=BB8_3 Depth=1
	v_mul_u64_e32 v[28:29], s[10:11], v[2:3]
	s_mov_b32 s16, 0
	s_delay_alu instid0(VALU_DEP_1)
	v_lshl_add_u64 v[28:29], v[28:29], 2, s[8:9]
	global_load_b32 v30, v[28:29], off
	s_wait_loadcnt_dscnt 0x0
	v_add_nc_u32_e32 v30, v30, v27
	global_store_b32 v[28:29], v30, off
.LBB8_50:                               ;   in Loop: Header=BB8_3 Depth=1
	s_and_not1_b32 vcc_lo, exec_lo, s16
	s_cbranch_vccnz .LBB8_2
; %bb.51:                               ;   in Loop: Header=BB8_3 Depth=1
	s_wait_xcnt 0x0
	v_lshl_add_u64 v[28:29], v[2:3], 2, s[12:13]
	global_load_b32 v2, v[28:29], off
	s_wait_loadcnt_dscnt 0x0
	v_add_nc_u32_e32 v2, v2, v27
	global_store_b32 v[28:29], v2, off
	s_branch .LBB8_2
.LBB8_52:
	s_endpgm
	.section	.rodata,"a",@progbits
	.p2align	6, 0x0
	.amdhsa_kernel _ZN9rocsparseL28coommnn_general_block_reduceILj1024EiiiEEvT1_S1_PKS1_PKT0_PT2_ll16rocsparse_order_
		.amdhsa_group_segment_fixed_size 8192
		.amdhsa_private_segment_fixed_size 0
		.amdhsa_kernarg_size 52
		.amdhsa_user_sgpr_count 2
		.amdhsa_user_sgpr_dispatch_ptr 0
		.amdhsa_user_sgpr_queue_ptr 0
		.amdhsa_user_sgpr_kernarg_segment_ptr 1
		.amdhsa_user_sgpr_dispatch_id 0
		.amdhsa_user_sgpr_kernarg_preload_length 0
		.amdhsa_user_sgpr_kernarg_preload_offset 0
		.amdhsa_user_sgpr_private_segment_size 0
		.amdhsa_wavefront_size32 1
		.amdhsa_uses_dynamic_stack 0
		.amdhsa_enable_private_segment 0
		.amdhsa_system_sgpr_workgroup_id_x 1
		.amdhsa_system_sgpr_workgroup_id_y 0
		.amdhsa_system_sgpr_workgroup_id_z 1
		.amdhsa_system_sgpr_workgroup_info 0
		.amdhsa_system_vgpr_workitem_id 0
		.amdhsa_next_free_vgpr 31
		.amdhsa_next_free_sgpr 30
		.amdhsa_named_barrier_count 0
		.amdhsa_reserve_vcc 1
		.amdhsa_float_round_mode_32 0
		.amdhsa_float_round_mode_16_64 0
		.amdhsa_float_denorm_mode_32 3
		.amdhsa_float_denorm_mode_16_64 3
		.amdhsa_fp16_overflow 0
		.amdhsa_memory_ordered 1
		.amdhsa_forward_progress 1
		.amdhsa_inst_pref_size 16
		.amdhsa_round_robin_scheduling 0
		.amdhsa_exception_fp_ieee_invalid_op 0
		.amdhsa_exception_fp_denorm_src 0
		.amdhsa_exception_fp_ieee_div_zero 0
		.amdhsa_exception_fp_ieee_overflow 0
		.amdhsa_exception_fp_ieee_underflow 0
		.amdhsa_exception_fp_ieee_inexact 0
		.amdhsa_exception_int_div_zero 0
	.end_amdhsa_kernel
	.section	.text._ZN9rocsparseL28coommnn_general_block_reduceILj1024EiiiEEvT1_S1_PKS1_PKT0_PT2_ll16rocsparse_order_,"axG",@progbits,_ZN9rocsparseL28coommnn_general_block_reduceILj1024EiiiEEvT1_S1_PKS1_PKT0_PT2_ll16rocsparse_order_,comdat
.Lfunc_end8:
	.size	_ZN9rocsparseL28coommnn_general_block_reduceILj1024EiiiEEvT1_S1_PKS1_PKT0_PT2_ll16rocsparse_order_, .Lfunc_end8-_ZN9rocsparseL28coommnn_general_block_reduceILj1024EiiiEEvT1_S1_PKS1_PKT0_PT2_ll16rocsparse_order_
                                        ; -- End function
	.set _ZN9rocsparseL28coommnn_general_block_reduceILj1024EiiiEEvT1_S1_PKS1_PKT0_PT2_ll16rocsparse_order_.num_vgpr, 31
	.set _ZN9rocsparseL28coommnn_general_block_reduceILj1024EiiiEEvT1_S1_PKS1_PKT0_PT2_ll16rocsparse_order_.num_agpr, 0
	.set _ZN9rocsparseL28coommnn_general_block_reduceILj1024EiiiEEvT1_S1_PKS1_PKT0_PT2_ll16rocsparse_order_.numbered_sgpr, 30
	.set _ZN9rocsparseL28coommnn_general_block_reduceILj1024EiiiEEvT1_S1_PKS1_PKT0_PT2_ll16rocsparse_order_.num_named_barrier, 0
	.set _ZN9rocsparseL28coommnn_general_block_reduceILj1024EiiiEEvT1_S1_PKS1_PKT0_PT2_ll16rocsparse_order_.private_seg_size, 0
	.set _ZN9rocsparseL28coommnn_general_block_reduceILj1024EiiiEEvT1_S1_PKS1_PKT0_PT2_ll16rocsparse_order_.uses_vcc, 1
	.set _ZN9rocsparseL28coommnn_general_block_reduceILj1024EiiiEEvT1_S1_PKS1_PKT0_PT2_ll16rocsparse_order_.uses_flat_scratch, 0
	.set _ZN9rocsparseL28coommnn_general_block_reduceILj1024EiiiEEvT1_S1_PKS1_PKT0_PT2_ll16rocsparse_order_.has_dyn_sized_stack, 0
	.set _ZN9rocsparseL28coommnn_general_block_reduceILj1024EiiiEEvT1_S1_PKS1_PKT0_PT2_ll16rocsparse_order_.has_recursion, 0
	.set _ZN9rocsparseL28coommnn_general_block_reduceILj1024EiiiEEvT1_S1_PKS1_PKT0_PT2_ll16rocsparse_order_.has_indirect_call, 0
	.section	.AMDGPU.csdata,"",@progbits
; Kernel info:
; codeLenInByte = 2020
; TotalNumSgprs: 32
; NumVgprs: 31
; ScratchSize: 0
; MemoryBound: 0
; FloatMode: 240
; IeeeMode: 1
; LDSByteSize: 8192 bytes/workgroup (compile time only)
; SGPRBlocks: 0
; VGPRBlocks: 1
; NumSGPRsForWavesPerEU: 32
; NumVGPRsForWavesPerEU: 31
; NamedBarCnt: 0
; Occupancy: 16
; WaveLimiterHint : 0
; COMPUTE_PGM_RSRC2:SCRATCH_EN: 0
; COMPUTE_PGM_RSRC2:USER_SGPR: 2
; COMPUTE_PGM_RSRC2:TRAP_HANDLER: 0
; COMPUTE_PGM_RSRC2:TGID_X_EN: 1
; COMPUTE_PGM_RSRC2:TGID_Y_EN: 0
; COMPUTE_PGM_RSRC2:TGID_Z_EN: 1
; COMPUTE_PGM_RSRC2:TIDIG_COMP_CNT: 0
	.section	.text._ZN9rocsparseL28coommnn_general_block_reduceILj1024EiliEEvT1_S1_PKS1_PKT0_PT2_ll16rocsparse_order_,"axG",@progbits,_ZN9rocsparseL28coommnn_general_block_reduceILj1024EiliEEvT1_S1_PKS1_PKT0_PT2_ll16rocsparse_order_,comdat
	.globl	_ZN9rocsparseL28coommnn_general_block_reduceILj1024EiliEEvT1_S1_PKS1_PKT0_PT2_ll16rocsparse_order_ ; -- Begin function _ZN9rocsparseL28coommnn_general_block_reduceILj1024EiliEEvT1_S1_PKS1_PKT0_PT2_ll16rocsparse_order_
	.p2align	8
	.type	_ZN9rocsparseL28coommnn_general_block_reduceILj1024EiliEEvT1_S1_PKS1_PKT0_PT2_ll16rocsparse_order_,@function
_ZN9rocsparseL28coommnn_general_block_reduceILj1024EiliEEvT1_S1_PKS1_PKT0_PT2_ll16rocsparse_order_: ; @_ZN9rocsparseL28coommnn_general_block_reduceILj1024EiliEEvT1_S1_PKS1_PKT0_PT2_ll16rocsparse_order_
; %bb.0:
	s_load_b128 s[12:15], s[0:1], 0x0
	s_wait_kmcnt 0x0
	v_cmp_lt_i64_e64 s2, s[14:15], 1
	s_and_b32 vcc_lo, exec_lo, s2
	s_cbranch_vccnz .LBB9_52
; %bb.1:
	s_clause 0x1
	s_load_b256 s[4:11], s[0:1], 0x10
	s_load_b96 s[16:18], s[0:1], 0x30
	s_wait_xcnt 0x0
	s_bfe_u32 s1, ttmp6, 0x40014
	s_bfe_u32 s19, ttmp6, 0x4000c
	s_lshr_b32 s0, ttmp7, 16
	s_add_co_i32 s1, s1, 1
	s_add_co_i32 s19, s19, 1
	s_bfe_u32 s2, ttmp6, 0x40008
	s_and_b32 s3, ttmp6, 15
	s_mul_i32 s1, s0, s1
	s_mul_i32 s19, ttmp9, s19
	s_getreg_b32 s20, hwreg(HW_REG_IB_STS2, 6, 4)
	s_add_co_i32 s1, s2, s1
	s_add_co_i32 s2, s3, s19
	s_cmp_eq_u32 s20, 0
	s_mov_b32 s3, 0
	s_cselect_b32 s30, s0, s1
	v_sub_co_u32 v3, s0, v0, 1
	s_cselect_b32 s2, ttmp9, s2
	s_xor_b32 s19, s0, -1
	v_sub_co_u32 v4, s0, v0, 2
	v_lshl_add_u32 v14, v3, 2, 0x2000
	s_xor_b32 s20, s0, -1
	v_sub_co_u32 v3, s0, v0, 4
	s_delay_alu instid0(VALU_DEP_3) | instskip(SKIP_2) | instid1(VALU_DEP_3)
	v_lshl_add_u32 v16, v4, 2, 0x2000
	s_xor_b32 s21, s0, -1
	v_sub_co_u32 v4, s0, v0, 8
	v_lshl_add_u32 v18, v3, 2, 0x2000
	s_xor_b32 s22, s0, -1
	v_sub_co_u32 v3, s0, v0, 16
	s_delay_alu instid0(VALU_DEP_3) | instskip(SKIP_2) | instid1(VALU_DEP_3)
	v_lshl_add_u32 v20, v4, 2, 0x2000
	;; [unrolled: 7-line block ×3, first 2 shown]
	s_xor_b32 s25, s0, -1
	v_subrev_co_u32 v4, s0, 0x80, v0
	v_lshl_add_u32 v26, v3, 2, 0x2000
	s_xor_b32 s26, s0, -1
	v_subrev_co_u32 v3, s0, 0x100, v0
	s_delay_alu instid0(VALU_DEP_3)
	v_lshl_add_u32 v28, v4, 2, 0x2000
	s_xor_b32 s27, s0, -1
	v_subrev_co_u32 v4, s0, 0x200, v0
	s_mov_b32 s31, s3
	s_lshl_b64 s[34:35], s[2:3], 2
	s_xor_b32 s28, s0, -1
	v_dual_mov_b32 v1, 0 :: v_dual_lshlrev_b32 v6, 2, v0
	s_wait_kmcnt 0x0
	s_cmp_lg_u32 s18, 1
	s_mul_u64 s[12:13], s[12:13], s[30:31]
	s_cselect_b32 s18, -1, 0
	s_lshl_b64 s[12:13], s[12:13], 2
	s_mul_u64 s[38:39], s[14:15], s[30:31]
	s_add_nc_u64 s[12:13], s[12:13], s[34:35]
	v_lshlrev_b32_e32 v2, 3, v0
	v_lshl_add_u32 v30, v3, 2, 0x2000
	v_dual_mov_b32 v3, v1 :: v_dual_mov_b32 v7, v1
	s_mul_u64 s[16:17], s[16:17], s[30:31]
	s_lshl_b64 s[30:31], s[38:39], 3
	s_mul_u64 s[12:13], s[14:15], s[12:13]
	s_add_nc_u64 s[4:5], s[4:5], s[30:31]
	s_add_nc_u64 s[6:7], s[6:7], s[12:13]
	s_mul_u64 s[2:3], s[10:11], s[2:3]
	v_or_b32_e32 v12, 0x2000, v6
	v_lshl_add_u32 v32, v4, 2, 0x2000
	v_add_nc_u64_e32 v[4:5], s[4:5], v[2:3]
	v_add_nc_u64_e32 v[6:7], s[6:7], v[6:7]
	s_lshl_b64 s[2:3], s[2:3], 2
	v_dual_add_nc_u32 v13, -8, v2 :: v_dual_add_nc_u32 v15, -16, v2
	v_subrev_nc_u32_e32 v17, 32, v2
	v_subrev_nc_u32_e32 v19, 64, v2
	v_add_nc_u32_e32 v21, 0xffffff80, v2
	v_add_nc_u32_e32 v23, 0xffffff00, v2
	;; [unrolled: 1-line block ×6, first 2 shown]
	v_cmp_ne_u32_e64 s0, 0x3ff, v0
	s_add_nc_u64 s[36:37], s[8:9], s[34:35]
	s_lshl_b64 s[4:5], s[16:17], 2
	s_add_nc_u64 s[6:7], s[8:9], s[2:3]
	s_add_nc_u64 s[2:3], s[36:37], s[4:5]
	;; [unrolled: 1-line block ×3, first 2 shown]
	s_mov_b64 s[6:7], 0
	s_branch .LBB9_3
.LBB9_2:                                ;   in Loop: Header=BB9_3 Depth=1
	s_wait_xcnt 0x0
	s_or_b32 exec_lo, exec_lo, s1
	s_add_nc_u64 s[6:7], s[6:7], 0x400
	v_add_nc_u64_e32 v[4:5], 0x2000, v[4:5]
	v_cmp_ge_i64_e64 s1, s[6:7], s[14:15]
	v_add_nc_u64_e32 v[6:7], 0x1000, v[6:7]
	s_wait_storecnt_dscnt 0x0
	s_barrier_signal -1
	s_barrier_wait -1
	s_and_b32 vcc_lo, exec_lo, s1
	s_cbranch_vccnz .LBB9_52
.LBB9_3:                                ; =>This Inner Loop Header: Depth=1
	v_add_nc_u64_e32 v[8:9], s[6:7], v[0:1]
	v_mov_b32_e32 v3, 0
	s_delay_alu instid0(VALU_DEP_2)
	v_cmp_gt_i64_e32 vcc_lo, s[14:15], v[8:9]
	v_mov_b64_e32 v[8:9], -1
	s_and_saveexec_b32 s1, vcc_lo
	s_cbranch_execz .LBB9_5
; %bb.4:                                ;   in Loop: Header=BB9_3 Depth=1
	global_load_b64 v[8:9], v[4:5], off
	global_load_b32 v3, v[6:7], off
.LBB9_5:                                ;   in Loop: Header=BB9_3 Depth=1
	s_wait_xcnt 0x0
	s_or_b32 exec_lo, exec_lo, s1
	s_wait_loadcnt 0x1
	ds_store_b64 v2, v[8:9]
	s_wait_loadcnt 0x0
	ds_store_b32 v12, v3
	v_dual_mov_b32 v3, 0 :: v_dual_mov_b32 v8, 0
	s_wait_dscnt 0x0
	s_barrier_signal -1
	s_barrier_wait -1
	s_and_saveexec_b32 s1, s19
	s_cbranch_execz .LBB9_9
; %bb.6:                                ;   in Loop: Header=BB9_3 Depth=1
	ds_load_2addr_b64 v[8:11], v13 offset1:1
	s_wait_dscnt 0x0
	v_cmp_eq_u64_e32 vcc_lo, v[10:11], v[8:9]
	v_mov_b32_e32 v8, 0
	s_and_saveexec_b32 s8, vcc_lo
; %bb.7:                                ;   in Loop: Header=BB9_3 Depth=1
	ds_load_b32 v8, v14
; %bb.8:                                ;   in Loop: Header=BB9_3 Depth=1
	s_or_b32 exec_lo, exec_lo, s8
.LBB9_9:                                ;   in Loop: Header=BB9_3 Depth=1
	s_delay_alu instid0(SALU_CYCLE_1)
	s_or_b32 exec_lo, exec_lo, s1
	s_wait_dscnt 0x0
	s_barrier_signal -1
	s_barrier_wait -1
	ds_load_b32 v9, v12
	s_wait_dscnt 0x0
	v_add_nc_u32_e32 v8, v9, v8
	ds_store_b32 v12, v8
	s_wait_dscnt 0x0
	s_barrier_signal -1
	s_barrier_wait -1
	s_and_saveexec_b32 s1, s20
	s_cbranch_execz .LBB9_13
; %bb.10:                               ;   in Loop: Header=BB9_3 Depth=1
	ds_load_b64 v[8:9], v2
	ds_load_b64 v[10:11], v15
	v_mov_b32_e32 v3, 0
	s_mov_b32 s8, exec_lo
	s_wait_dscnt 0x0
	v_cmpx_eq_u64_e64 v[8:9], v[10:11]
; %bb.11:                               ;   in Loop: Header=BB9_3 Depth=1
	ds_load_b32 v3, v16
; %bb.12:                               ;   in Loop: Header=BB9_3 Depth=1
	s_or_b32 exec_lo, exec_lo, s8
.LBB9_13:                               ;   in Loop: Header=BB9_3 Depth=1
	s_delay_alu instid0(SALU_CYCLE_1)
	s_or_b32 exec_lo, exec_lo, s1
	s_wait_dscnt 0x0
	s_barrier_signal -1
	s_barrier_wait -1
	ds_load_b32 v8, v12
	s_wait_dscnt 0x0
	v_dual_add_nc_u32 v9, v8, v3 :: v_dual_mov_b32 v3, 0
	v_mov_b32_e32 v8, 0
	ds_store_b32 v12, v9
	s_wait_dscnt 0x0
	s_barrier_signal -1
	s_barrier_wait -1
	s_and_saveexec_b32 s1, s21
	s_cbranch_execz .LBB9_17
; %bb.14:                               ;   in Loop: Header=BB9_3 Depth=1
	ds_load_b64 v[8:9], v2
	ds_load_b64 v[10:11], v17
	s_wait_dscnt 0x0
	v_cmp_eq_u64_e32 vcc_lo, v[8:9], v[10:11]
	v_mov_b32_e32 v8, 0
	s_and_saveexec_b32 s8, vcc_lo
; %bb.15:                               ;   in Loop: Header=BB9_3 Depth=1
	ds_load_b32 v8, v18
; %bb.16:                               ;   in Loop: Header=BB9_3 Depth=1
	s_or_b32 exec_lo, exec_lo, s8
.LBB9_17:                               ;   in Loop: Header=BB9_3 Depth=1
	s_delay_alu instid0(SALU_CYCLE_1)
	s_or_b32 exec_lo, exec_lo, s1
	s_wait_dscnt 0x0
	s_barrier_signal -1
	s_barrier_wait -1
	ds_load_b32 v9, v12
	s_wait_dscnt 0x0
	v_add_nc_u32_e32 v8, v9, v8
	ds_store_b32 v12, v8
	s_wait_dscnt 0x0
	s_barrier_signal -1
	s_barrier_wait -1
	s_and_saveexec_b32 s1, s22
	s_cbranch_execz .LBB9_21
; %bb.18:                               ;   in Loop: Header=BB9_3 Depth=1
	ds_load_b64 v[8:9], v2
	ds_load_b64 v[10:11], v19
	v_mov_b32_e32 v3, 0
	s_mov_b32 s8, exec_lo
	s_wait_dscnt 0x0
	v_cmpx_eq_u64_e64 v[8:9], v[10:11]
; %bb.19:                               ;   in Loop: Header=BB9_3 Depth=1
	ds_load_b32 v3, v20
; %bb.20:                               ;   in Loop: Header=BB9_3 Depth=1
	s_or_b32 exec_lo, exec_lo, s8
.LBB9_21:                               ;   in Loop: Header=BB9_3 Depth=1
	s_delay_alu instid0(SALU_CYCLE_1)
	s_or_b32 exec_lo, exec_lo, s1
	s_wait_dscnt 0x0
	s_barrier_signal -1
	s_barrier_wait -1
	ds_load_b32 v8, v12
	s_wait_dscnt 0x0
	v_dual_add_nc_u32 v9, v8, v3 :: v_dual_mov_b32 v3, 0
	v_mov_b32_e32 v8, 0
	ds_store_b32 v12, v9
	s_wait_dscnt 0x0
	s_barrier_signal -1
	s_barrier_wait -1
	s_and_saveexec_b32 s1, s23
	s_cbranch_execz .LBB9_25
; %bb.22:                               ;   in Loop: Header=BB9_3 Depth=1
	ds_load_b64 v[8:9], v2
	ds_load_b64 v[10:11], v21
	s_wait_dscnt 0x0
	v_cmp_eq_u64_e32 vcc_lo, v[8:9], v[10:11]
	v_mov_b32_e32 v8, 0
	s_and_saveexec_b32 s8, vcc_lo
; %bb.23:                               ;   in Loop: Header=BB9_3 Depth=1
	ds_load_b32 v8, v22
; %bb.24:                               ;   in Loop: Header=BB9_3 Depth=1
	s_or_b32 exec_lo, exec_lo, s8
.LBB9_25:                               ;   in Loop: Header=BB9_3 Depth=1
	;; [unrolled: 53-line block ×4, first 2 shown]
	s_delay_alu instid0(SALU_CYCLE_1)
	s_or_b32 exec_lo, exec_lo, s1
	s_wait_dscnt 0x0
	s_barrier_signal -1
	s_barrier_wait -1
	ds_load_b32 v9, v12
	s_wait_dscnt 0x0
	v_add_nc_u32_e32 v8, v9, v8
	ds_store_b32 v12, v8
	s_wait_dscnt 0x0
	s_barrier_signal -1
	s_barrier_wait -1
	s_and_saveexec_b32 s1, s28
	s_cbranch_execz .LBB9_45
; %bb.42:                               ;   in Loop: Header=BB9_3 Depth=1
	ds_load_b64 v[8:9], v2
	ds_load_b64 v[10:11], v31
	v_mov_b32_e32 v3, 0
	s_mov_b32 s8, exec_lo
	s_wait_dscnt 0x0
	v_cmpx_eq_u64_e64 v[8:9], v[10:11]
; %bb.43:                               ;   in Loop: Header=BB9_3 Depth=1
	ds_load_b32 v3, v32
; %bb.44:                               ;   in Loop: Header=BB9_3 Depth=1
	s_or_b32 exec_lo, exec_lo, s8
.LBB9_45:                               ;   in Loop: Header=BB9_3 Depth=1
	s_delay_alu instid0(SALU_CYCLE_1)
	s_or_b32 exec_lo, exec_lo, s1
	s_wait_dscnt 0x0
	s_barrier_signal -1
	s_barrier_wait -1
	ds_load_b32 v8, v12
	v_mov_b64_e32 v[10:11], -1
	s_wait_dscnt 0x0
	v_add_nc_u32_e32 v3, v8, v3
	ds_store_b32 v12, v3
	s_wait_dscnt 0x0
	s_barrier_signal -1
	s_barrier_wait -1
	ds_load_b64 v[8:9], v2
	s_and_saveexec_b32 s1, s0
; %bb.46:                               ;   in Loop: Header=BB9_3 Depth=1
	ds_load_b64 v[10:11], v2 offset:8
; %bb.47:                               ;   in Loop: Header=BB9_3 Depth=1
	s_or_b32 exec_lo, exec_lo, s1
	s_wait_dscnt 0x0
	v_cmp_ne_u64_e32 vcc_lo, v[8:9], v[10:11]
	v_cmp_lt_i64_e64 s1, -1, v[8:9]
	s_and_b32 s8, s1, vcc_lo
	s_delay_alu instid0(SALU_CYCLE_1)
	s_and_saveexec_b32 s1, s8
	s_cbranch_execz .LBB9_2
; %bb.48:                               ;   in Loop: Header=BB9_3 Depth=1
	ds_load_b32 v3, v12
	s_and_b32 vcc_lo, exec_lo, s18
	s_mov_b32 s8, -1
	s_cbranch_vccz .LBB9_50
; %bb.49:                               ;   in Loop: Header=BB9_3 Depth=1
	v_mul_u64_e32 v[10:11], s[10:11], v[8:9]
	s_mov_b32 s8, 0
	s_delay_alu instid0(VALU_DEP_1)
	v_lshl_add_u64 v[10:11], v[10:11], 2, s[2:3]
	global_load_b32 v33, v[10:11], off
	s_wait_loadcnt_dscnt 0x0
	v_add_nc_u32_e32 v33, v33, v3
	global_store_b32 v[10:11], v33, off
.LBB9_50:                               ;   in Loop: Header=BB9_3 Depth=1
	s_and_not1_b32 vcc_lo, exec_lo, s8
	s_cbranch_vccnz .LBB9_2
; %bb.51:                               ;   in Loop: Header=BB9_3 Depth=1
	v_lshl_add_u64 v[8:9], v[8:9], 2, s[4:5]
	global_load_b32 v10, v[8:9], off
	s_wait_loadcnt_dscnt 0x0
	v_add_nc_u32_e32 v3, v10, v3
	global_store_b32 v[8:9], v3, off
	s_branch .LBB9_2
.LBB9_52:
	s_endpgm
	.section	.rodata,"a",@progbits
	.p2align	6, 0x0
	.amdhsa_kernel _ZN9rocsparseL28coommnn_general_block_reduceILj1024EiliEEvT1_S1_PKS1_PKT0_PT2_ll16rocsparse_order_
		.amdhsa_group_segment_fixed_size 12288
		.amdhsa_private_segment_fixed_size 0
		.amdhsa_kernarg_size 60
		.amdhsa_user_sgpr_count 2
		.amdhsa_user_sgpr_dispatch_ptr 0
		.amdhsa_user_sgpr_queue_ptr 0
		.amdhsa_user_sgpr_kernarg_segment_ptr 1
		.amdhsa_user_sgpr_dispatch_id 0
		.amdhsa_user_sgpr_kernarg_preload_length 0
		.amdhsa_user_sgpr_kernarg_preload_offset 0
		.amdhsa_user_sgpr_private_segment_size 0
		.amdhsa_wavefront_size32 1
		.amdhsa_uses_dynamic_stack 0
		.amdhsa_enable_private_segment 0
		.amdhsa_system_sgpr_workgroup_id_x 1
		.amdhsa_system_sgpr_workgroup_id_y 0
		.amdhsa_system_sgpr_workgroup_id_z 1
		.amdhsa_system_sgpr_workgroup_info 0
		.amdhsa_system_vgpr_workitem_id 0
		.amdhsa_next_free_vgpr 34
		.amdhsa_next_free_sgpr 40
		.amdhsa_named_barrier_count 0
		.amdhsa_reserve_vcc 1
		.amdhsa_float_round_mode_32 0
		.amdhsa_float_round_mode_16_64 0
		.amdhsa_float_denorm_mode_32 3
		.amdhsa_float_denorm_mode_16_64 3
		.amdhsa_fp16_overflow 0
		.amdhsa_memory_ordered 1
		.amdhsa_forward_progress 1
		.amdhsa_inst_pref_size 17
		.amdhsa_round_robin_scheduling 0
		.amdhsa_exception_fp_ieee_invalid_op 0
		.amdhsa_exception_fp_denorm_src 0
		.amdhsa_exception_fp_ieee_div_zero 0
		.amdhsa_exception_fp_ieee_overflow 0
		.amdhsa_exception_fp_ieee_underflow 0
		.amdhsa_exception_fp_ieee_inexact 0
		.amdhsa_exception_int_div_zero 0
	.end_amdhsa_kernel
	.section	.text._ZN9rocsparseL28coommnn_general_block_reduceILj1024EiliEEvT1_S1_PKS1_PKT0_PT2_ll16rocsparse_order_,"axG",@progbits,_ZN9rocsparseL28coommnn_general_block_reduceILj1024EiliEEvT1_S1_PKS1_PKT0_PT2_ll16rocsparse_order_,comdat
.Lfunc_end9:
	.size	_ZN9rocsparseL28coommnn_general_block_reduceILj1024EiliEEvT1_S1_PKS1_PKT0_PT2_ll16rocsparse_order_, .Lfunc_end9-_ZN9rocsparseL28coommnn_general_block_reduceILj1024EiliEEvT1_S1_PKS1_PKT0_PT2_ll16rocsparse_order_
                                        ; -- End function
	.set _ZN9rocsparseL28coommnn_general_block_reduceILj1024EiliEEvT1_S1_PKS1_PKT0_PT2_ll16rocsparse_order_.num_vgpr, 34
	.set _ZN9rocsparseL28coommnn_general_block_reduceILj1024EiliEEvT1_S1_PKS1_PKT0_PT2_ll16rocsparse_order_.num_agpr, 0
	.set _ZN9rocsparseL28coommnn_general_block_reduceILj1024EiliEEvT1_S1_PKS1_PKT0_PT2_ll16rocsparse_order_.numbered_sgpr, 40
	.set _ZN9rocsparseL28coommnn_general_block_reduceILj1024EiliEEvT1_S1_PKS1_PKT0_PT2_ll16rocsparse_order_.num_named_barrier, 0
	.set _ZN9rocsparseL28coommnn_general_block_reduceILj1024EiliEEvT1_S1_PKS1_PKT0_PT2_ll16rocsparse_order_.private_seg_size, 0
	.set _ZN9rocsparseL28coommnn_general_block_reduceILj1024EiliEEvT1_S1_PKS1_PKT0_PT2_ll16rocsparse_order_.uses_vcc, 1
	.set _ZN9rocsparseL28coommnn_general_block_reduceILj1024EiliEEvT1_S1_PKS1_PKT0_PT2_ll16rocsparse_order_.uses_flat_scratch, 0
	.set _ZN9rocsparseL28coommnn_general_block_reduceILj1024EiliEEvT1_S1_PKS1_PKT0_PT2_ll16rocsparse_order_.has_dyn_sized_stack, 0
	.set _ZN9rocsparseL28coommnn_general_block_reduceILj1024EiliEEvT1_S1_PKS1_PKT0_PT2_ll16rocsparse_order_.has_recursion, 0
	.set _ZN9rocsparseL28coommnn_general_block_reduceILj1024EiliEEvT1_S1_PKS1_PKT0_PT2_ll16rocsparse_order_.has_indirect_call, 0
	.section	.AMDGPU.csdata,"",@progbits
; Kernel info:
; codeLenInByte = 2100
; TotalNumSgprs: 42
; NumVgprs: 34
; ScratchSize: 0
; MemoryBound: 0
; FloatMode: 240
; IeeeMode: 1
; LDSByteSize: 12288 bytes/workgroup (compile time only)
; SGPRBlocks: 0
; VGPRBlocks: 2
; NumSGPRsForWavesPerEU: 42
; NumVGPRsForWavesPerEU: 34
; NamedBarCnt: 0
; Occupancy: 16
; WaveLimiterHint : 0
; COMPUTE_PGM_RSRC2:SCRATCH_EN: 0
; COMPUTE_PGM_RSRC2:USER_SGPR: 2
; COMPUTE_PGM_RSRC2:TRAP_HANDLER: 0
; COMPUTE_PGM_RSRC2:TGID_X_EN: 1
; COMPUTE_PGM_RSRC2:TGID_Y_EN: 0
; COMPUTE_PGM_RSRC2:TGID_Z_EN: 1
; COMPUTE_PGM_RSRC2:TIDIG_COMP_CNT: 0
	.section	.AMDGPU.gpr_maximums,"",@progbits
	.set amdgpu.max_num_vgpr, 0
	.set amdgpu.max_num_agpr, 0
	.set amdgpu.max_num_sgpr, 0
	.section	.AMDGPU.csdata,"",@progbits
	.type	__hip_cuid_5ee8d9675a3deb84,@object ; @__hip_cuid_5ee8d9675a3deb84
	.section	.bss,"aw",@nobits
	.globl	__hip_cuid_5ee8d9675a3deb84
__hip_cuid_5ee8d9675a3deb84:
	.byte	0                               ; 0x0
	.size	__hip_cuid_5ee8d9675a3deb84, 1

	.ident	"AMD clang version 22.0.0git (https://github.com/RadeonOpenCompute/llvm-project roc-7.2.4 26084 f58b06dce1f9c15707c5f808fd002e18c2accf7e)"
	.section	".note.GNU-stack","",@progbits
	.addrsig
	.addrsig_sym __hip_cuid_5ee8d9675a3deb84
	.amdgpu_metadata
---
amdhsa.kernels:
  - .args:
      - .offset:         0
        .size:           4
        .value_kind:     by_value
      - .offset:         4
        .size:           4
        .value_kind:     by_value
      - .actual_access:  read_only
        .address_space:  global
        .offset:         8
        .size:           8
        .value_kind:     global_buffer
      - .actual_access:  read_only
        .address_space:  global
        .offset:         16
        .size:           8
        .value_kind:     global_buffer
      - .address_space:  global
        .offset:         24
        .size:           8
        .value_kind:     global_buffer
      - .offset:         32
        .size:           8
        .value_kind:     by_value
      - .offset:         40
        .size:           8
        .value_kind:     by_value
      - .offset:         48
        .size:           4
        .value_kind:     by_value
    .group_segment_fixed_size: 8192
    .kernarg_segment_align: 8
    .kernarg_segment_size: 52
    .language:       OpenCL C
    .language_version:
      - 2
      - 0
    .max_flat_workgroup_size: 1024
    .name:           _ZN9rocsparseL28coommnn_general_block_reduceILj1024EfifEEvT1_S1_PKS1_PKT0_PT2_ll16rocsparse_order_
    .private_segment_fixed_size: 0
    .sgpr_count:     32
    .sgpr_spill_count: 0
    .symbol:         _ZN9rocsparseL28coommnn_general_block_reduceILj1024EfifEEvT1_S1_PKS1_PKT0_PT2_ll16rocsparse_order_.kd
    .uniform_work_group_size: 1
    .uses_dynamic_stack: false
    .vgpr_count:     31
    .vgpr_spill_count: 0
    .wavefront_size: 32
  - .args:
      - .offset:         0
        .size:           8
        .value_kind:     by_value
      - .offset:         8
        .size:           8
        .value_kind:     by_value
      - .actual_access:  read_only
        .address_space:  global
        .offset:         16
        .size:           8
        .value_kind:     global_buffer
      - .actual_access:  read_only
        .address_space:  global
        .offset:         24
        .size:           8
        .value_kind:     global_buffer
      - .address_space:  global
        .offset:         32
        .size:           8
        .value_kind:     global_buffer
      - .offset:         40
        .size:           8
        .value_kind:     by_value
      - .offset:         48
        .size:           8
        .value_kind:     by_value
      - .offset:         56
        .size:           4
        .value_kind:     by_value
    .group_segment_fixed_size: 12288
    .kernarg_segment_align: 8
    .kernarg_segment_size: 60
    .language:       OpenCL C
    .language_version:
      - 2
      - 0
    .max_flat_workgroup_size: 1024
    .name:           _ZN9rocsparseL28coommnn_general_block_reduceILj1024EflfEEvT1_S1_PKS1_PKT0_PT2_ll16rocsparse_order_
    .private_segment_fixed_size: 0
    .sgpr_count:     42
    .sgpr_spill_count: 0
    .symbol:         _ZN9rocsparseL28coommnn_general_block_reduceILj1024EflfEEvT1_S1_PKS1_PKT0_PT2_ll16rocsparse_order_.kd
    .uniform_work_group_size: 1
    .uses_dynamic_stack: false
    .vgpr_count:     34
    .vgpr_spill_count: 0
    .wavefront_size: 32
  - .args:
      - .offset:         0
        .size:           4
        .value_kind:     by_value
      - .offset:         4
        .size:           4
        .value_kind:     by_value
      - .actual_access:  read_only
        .address_space:  global
        .offset:         8
        .size:           8
        .value_kind:     global_buffer
      - .actual_access:  read_only
        .address_space:  global
        .offset:         16
        .size:           8
        .value_kind:     global_buffer
      - .address_space:  global
        .offset:         24
        .size:           8
        .value_kind:     global_buffer
      - .offset:         32
        .size:           8
        .value_kind:     by_value
      - .offset:         40
        .size:           8
        .value_kind:     by_value
      - .offset:         48
        .size:           4
        .value_kind:     by_value
    .group_segment_fixed_size: 12288
    .kernarg_segment_align: 8
    .kernarg_segment_size: 52
    .language:       OpenCL C
    .language_version:
      - 2
      - 0
    .max_flat_workgroup_size: 1024
    .name:           _ZN9rocsparseL28coommnn_general_block_reduceILj1024EdidEEvT1_S1_PKS1_PKT0_PT2_ll16rocsparse_order_
    .private_segment_fixed_size: 0
    .sgpr_count:     32
    .sgpr_spill_count: 0
    .symbol:         _ZN9rocsparseL28coommnn_general_block_reduceILj1024EdidEEvT1_S1_PKS1_PKT0_PT2_ll16rocsparse_order_.kd
    .uniform_work_group_size: 1
    .uses_dynamic_stack: false
    .vgpr_count:     34
    .vgpr_spill_count: 0
    .wavefront_size: 32
  - .args:
      - .offset:         0
        .size:           8
        .value_kind:     by_value
      - .offset:         8
        .size:           8
        .value_kind:     by_value
      - .actual_access:  read_only
        .address_space:  global
        .offset:         16
        .size:           8
        .value_kind:     global_buffer
      - .actual_access:  read_only
        .address_space:  global
        .offset:         24
        .size:           8
        .value_kind:     global_buffer
      - .address_space:  global
        .offset:         32
        .size:           8
        .value_kind:     global_buffer
      - .offset:         40
        .size:           8
        .value_kind:     by_value
      - .offset:         48
        .size:           8
        .value_kind:     by_value
      - .offset:         56
        .size:           4
        .value_kind:     by_value
    .group_segment_fixed_size: 16384
    .kernarg_segment_align: 8
    .kernarg_segment_size: 60
    .language:       OpenCL C
    .language_version:
      - 2
      - 0
    .max_flat_workgroup_size: 1024
    .name:           _ZN9rocsparseL28coommnn_general_block_reduceILj1024EdldEEvT1_S1_PKS1_PKT0_PT2_ll16rocsparse_order_
    .private_segment_fixed_size: 0
    .sgpr_count:     40
    .sgpr_spill_count: 0
    .symbol:         _ZN9rocsparseL28coommnn_general_block_reduceILj1024EdldEEvT1_S1_PKS1_PKT0_PT2_ll16rocsparse_order_.kd
    .uniform_work_group_size: 1
    .uses_dynamic_stack: false
    .vgpr_count:     38
    .vgpr_spill_count: 0
    .wavefront_size: 32
  - .args:
      - .offset:         0
        .size:           4
        .value_kind:     by_value
      - .offset:         4
        .size:           4
        .value_kind:     by_value
      - .actual_access:  read_only
        .address_space:  global
        .offset:         8
        .size:           8
        .value_kind:     global_buffer
      - .actual_access:  read_only
        .address_space:  global
        .offset:         16
        .size:           8
        .value_kind:     global_buffer
      - .address_space:  global
        .offset:         24
        .size:           8
        .value_kind:     global_buffer
      - .offset:         32
        .size:           8
        .value_kind:     by_value
      - .offset:         40
        .size:           8
        .value_kind:     by_value
      - .offset:         48
        .size:           4
        .value_kind:     by_value
    .group_segment_fixed_size: 12288
    .kernarg_segment_align: 8
    .kernarg_segment_size: 52
    .language:       OpenCL C
    .language_version:
      - 2
      - 0
    .max_flat_workgroup_size: 1024
    .name:           _ZN9rocsparseL28coommnn_general_block_reduceILj1024E21rocsparse_complex_numIfEiS2_EEvT1_S3_PKS3_PKT0_PT2_ll16rocsparse_order_
    .private_segment_fixed_size: 0
    .sgpr_count:     32
    .sgpr_spill_count: 0
    .symbol:         _ZN9rocsparseL28coommnn_general_block_reduceILj1024E21rocsparse_complex_numIfEiS2_EEvT1_S3_PKS3_PKT0_PT2_ll16rocsparse_order_.kd
    .uniform_work_group_size: 1
    .uses_dynamic_stack: false
    .vgpr_count:     34
    .vgpr_spill_count: 0
    .wavefront_size: 32
  - .args:
      - .offset:         0
        .size:           8
        .value_kind:     by_value
      - .offset:         8
        .size:           8
        .value_kind:     by_value
      - .actual_access:  read_only
        .address_space:  global
        .offset:         16
        .size:           8
        .value_kind:     global_buffer
      - .actual_access:  read_only
        .address_space:  global
        .offset:         24
        .size:           8
        .value_kind:     global_buffer
      - .address_space:  global
        .offset:         32
        .size:           8
        .value_kind:     global_buffer
      - .offset:         40
        .size:           8
        .value_kind:     by_value
      - .offset:         48
        .size:           8
        .value_kind:     by_value
      - .offset:         56
        .size:           4
        .value_kind:     by_value
    .group_segment_fixed_size: 16384
    .kernarg_segment_align: 8
    .kernarg_segment_size: 60
    .language:       OpenCL C
    .language_version:
      - 2
      - 0
    .max_flat_workgroup_size: 1024
    .name:           _ZN9rocsparseL28coommnn_general_block_reduceILj1024E21rocsparse_complex_numIfElS2_EEvT1_S3_PKS3_PKT0_PT2_ll16rocsparse_order_
    .private_segment_fixed_size: 0
    .sgpr_count:     40
    .sgpr_spill_count: 0
    .symbol:         _ZN9rocsparseL28coommnn_general_block_reduceILj1024E21rocsparse_complex_numIfElS2_EEvT1_S3_PKS3_PKT0_PT2_ll16rocsparse_order_.kd
    .uniform_work_group_size: 1
    .uses_dynamic_stack: false
    .vgpr_count:     38
    .vgpr_spill_count: 0
    .wavefront_size: 32
  - .args:
      - .offset:         0
        .size:           4
        .value_kind:     by_value
      - .offset:         4
        .size:           4
        .value_kind:     by_value
      - .actual_access:  read_only
        .address_space:  global
        .offset:         8
        .size:           8
        .value_kind:     global_buffer
      - .actual_access:  read_only
        .address_space:  global
        .offset:         16
        .size:           8
        .value_kind:     global_buffer
      - .address_space:  global
        .offset:         24
        .size:           8
        .value_kind:     global_buffer
      - .offset:         32
        .size:           8
        .value_kind:     by_value
      - .offset:         40
        .size:           8
        .value_kind:     by_value
      - .offset:         48
        .size:           4
        .value_kind:     by_value
    .group_segment_fixed_size: 20480
    .kernarg_segment_align: 8
    .kernarg_segment_size: 52
    .language:       OpenCL C
    .language_version:
      - 2
      - 0
    .max_flat_workgroup_size: 1024
    .name:           _ZN9rocsparseL28coommnn_general_block_reduceILj1024E21rocsparse_complex_numIdEiS2_EEvT1_S3_PKS3_PKT0_PT2_ll16rocsparse_order_
    .private_segment_fixed_size: 0
    .sgpr_count:     32
    .sgpr_spill_count: 0
    .symbol:         _ZN9rocsparseL28coommnn_general_block_reduceILj1024E21rocsparse_complex_numIdEiS2_EEvT1_S3_PKS3_PKT0_PT2_ll16rocsparse_order_.kd
    .uniform_work_group_size: 1
    .uses_dynamic_stack: false
    .vgpr_count:     40
    .vgpr_spill_count: 0
    .wavefront_size: 32
  - .args:
      - .offset:         0
        .size:           8
        .value_kind:     by_value
      - .offset:         8
        .size:           8
        .value_kind:     by_value
      - .actual_access:  read_only
        .address_space:  global
        .offset:         16
        .size:           8
        .value_kind:     global_buffer
      - .actual_access:  read_only
        .address_space:  global
        .offset:         24
        .size:           8
        .value_kind:     global_buffer
      - .address_space:  global
        .offset:         32
        .size:           8
        .value_kind:     global_buffer
      - .offset:         40
        .size:           8
        .value_kind:     by_value
      - .offset:         48
        .size:           8
        .value_kind:     by_value
      - .offset:         56
        .size:           4
        .value_kind:     by_value
    .group_segment_fixed_size: 24576
    .kernarg_segment_align: 8
    .kernarg_segment_size: 60
    .language:       OpenCL C
    .language_version:
      - 2
      - 0
    .max_flat_workgroup_size: 1024
    .name:           _ZN9rocsparseL28coommnn_general_block_reduceILj1024E21rocsparse_complex_numIdElS2_EEvT1_S3_PKS3_PKT0_PT2_ll16rocsparse_order_
    .private_segment_fixed_size: 0
    .sgpr_count:     42
    .sgpr_spill_count: 0
    .symbol:         _ZN9rocsparseL28coommnn_general_block_reduceILj1024E21rocsparse_complex_numIdElS2_EEvT1_S3_PKS3_PKT0_PT2_ll16rocsparse_order_.kd
    .uniform_work_group_size: 1
    .uses_dynamic_stack: false
    .vgpr_count:     44
    .vgpr_spill_count: 0
    .wavefront_size: 32
  - .args:
      - .offset:         0
        .size:           4
        .value_kind:     by_value
      - .offset:         4
        .size:           4
        .value_kind:     by_value
      - .actual_access:  read_only
        .address_space:  global
        .offset:         8
        .size:           8
        .value_kind:     global_buffer
      - .actual_access:  read_only
        .address_space:  global
        .offset:         16
        .size:           8
        .value_kind:     global_buffer
      - .address_space:  global
        .offset:         24
        .size:           8
        .value_kind:     global_buffer
      - .offset:         32
        .size:           8
        .value_kind:     by_value
      - .offset:         40
        .size:           8
        .value_kind:     by_value
      - .offset:         48
        .size:           4
        .value_kind:     by_value
    .group_segment_fixed_size: 8192
    .kernarg_segment_align: 8
    .kernarg_segment_size: 52
    .language:       OpenCL C
    .language_version:
      - 2
      - 0
    .max_flat_workgroup_size: 1024
    .name:           _ZN9rocsparseL28coommnn_general_block_reduceILj1024EiiiEEvT1_S1_PKS1_PKT0_PT2_ll16rocsparse_order_
    .private_segment_fixed_size: 0
    .sgpr_count:     32
    .sgpr_spill_count: 0
    .symbol:         _ZN9rocsparseL28coommnn_general_block_reduceILj1024EiiiEEvT1_S1_PKS1_PKT0_PT2_ll16rocsparse_order_.kd
    .uniform_work_group_size: 1
    .uses_dynamic_stack: false
    .vgpr_count:     31
    .vgpr_spill_count: 0
    .wavefront_size: 32
  - .args:
      - .offset:         0
        .size:           8
        .value_kind:     by_value
      - .offset:         8
        .size:           8
        .value_kind:     by_value
      - .actual_access:  read_only
        .address_space:  global
        .offset:         16
        .size:           8
        .value_kind:     global_buffer
      - .actual_access:  read_only
        .address_space:  global
        .offset:         24
        .size:           8
        .value_kind:     global_buffer
      - .address_space:  global
        .offset:         32
        .size:           8
        .value_kind:     global_buffer
      - .offset:         40
        .size:           8
        .value_kind:     by_value
      - .offset:         48
        .size:           8
        .value_kind:     by_value
      - .offset:         56
        .size:           4
        .value_kind:     by_value
    .group_segment_fixed_size: 12288
    .kernarg_segment_align: 8
    .kernarg_segment_size: 60
    .language:       OpenCL C
    .language_version:
      - 2
      - 0
    .max_flat_workgroup_size: 1024
    .name:           _ZN9rocsparseL28coommnn_general_block_reduceILj1024EiliEEvT1_S1_PKS1_PKT0_PT2_ll16rocsparse_order_
    .private_segment_fixed_size: 0
    .sgpr_count:     42
    .sgpr_spill_count: 0
    .symbol:         _ZN9rocsparseL28coommnn_general_block_reduceILj1024EiliEEvT1_S1_PKS1_PKT0_PT2_ll16rocsparse_order_.kd
    .uniform_work_group_size: 1
    .uses_dynamic_stack: false
    .vgpr_count:     34
    .vgpr_spill_count: 0
    .wavefront_size: 32
amdhsa.target:   amdgcn-amd-amdhsa--gfx1250
amdhsa.version:
  - 1
  - 2
...

	.end_amdgpu_metadata
